;; amdgpu-corpus repo=ROCm/rocFFT kind=compiled arch=gfx950 opt=O3
	.text
	.amdgcn_target "amdgcn-amd-amdhsa--gfx950"
	.amdhsa_code_object_version 6
	.protected	fft_rtc_fwd_len289_factors_17_17_wgs_119_tpt_17_sp_op_CI_CI_sbcc_twdbase8_3step ; -- Begin function fft_rtc_fwd_len289_factors_17_17_wgs_119_tpt_17_sp_op_CI_CI_sbcc_twdbase8_3step
	.globl	fft_rtc_fwd_len289_factors_17_17_wgs_119_tpt_17_sp_op_CI_CI_sbcc_twdbase8_3step
	.p2align	8
	.type	fft_rtc_fwd_len289_factors_17_17_wgs_119_tpt_17_sp_op_CI_CI_sbcc_twdbase8_3step,@function
fft_rtc_fwd_len289_factors_17_17_wgs_119_tpt_17_sp_op_CI_CI_sbcc_twdbase8_3step: ; @fft_rtc_fwd_len289_factors_17_17_wgs_119_tpt_17_sp_op_CI_CI_sbcc_twdbase8_3step
; %bb.0:
	s_load_dwordx4 s[20:23], s[0:1], 0x18
	s_load_dwordx2 s[34:35], s[0:1], 0x28
	s_mov_b32 s3, 0
	s_mov_b64 s[26:27], 0
	s_waitcnt lgkmcnt(0)
	s_load_dwordx2 s[30:31], s[20:21], 0x8
	s_waitcnt lgkmcnt(0)
	s_add_u32 s4, s30, -1
	s_addc_u32 s5, s31, -1
	s_add_u32 s6, 0, 0x92481000
	s_addc_u32 s7, 0, 0x64
	s_mul_hi_u32 s9, s6, -7
	s_add_i32 s7, s7, 0x249248c0
	s_sub_i32 s9, s9, s6
	s_mul_i32 s12, s7, -7
	s_mul_i32 s8, s6, -7
	s_add_i32 s9, s9, s12
	s_mul_hi_u32 s10, s7, s8
	s_mul_i32 s11, s7, s8
	s_mul_i32 s13, s6, s9
	s_mul_hi_u32 s8, s6, s8
	s_mul_hi_u32 s12, s6, s9
	s_add_u32 s8, s8, s13
	s_addc_u32 s12, 0, s12
	s_add_u32 s8, s8, s11
	s_mul_hi_u32 s13, s7, s9
	s_addc_u32 s8, s12, s10
	s_addc_u32 s10, s13, 0
	s_mul_i32 s9, s7, s9
	s_add_u32 s8, s8, s9
	v_mov_b32_e32 v1, s8
	s_addc_u32 s9, 0, s10
	v_add_co_u32_e32 v1, vcc, s6, v1
	s_cmp_lg_u64 vcc, 0
	s_addc_u32 s6, s7, s9
	v_readfirstlane_b32 s9, v1
	s_mul_i32 s8, s4, s6
	s_mul_hi_u32 s10, s4, s9
	s_mul_hi_u32 s7, s4, s6
	s_add_u32 s8, s10, s8
	s_addc_u32 s7, 0, s7
	s_mul_hi_u32 s11, s5, s9
	s_mul_i32 s9, s5, s9
	s_add_u32 s8, s8, s9
	s_mul_hi_u32 s10, s5, s6
	s_addc_u32 s7, s7, s11
	s_addc_u32 s8, s10, 0
	s_mul_i32 s6, s5, s6
	s_add_u32 s6, s7, s6
	s_addc_u32 s7, 0, s8
	s_add_u32 s8, s6, 1
	s_addc_u32 s9, s7, 0
	s_add_u32 s10, s6, 2
	s_mul_i32 s12, s7, 7
	s_mul_hi_u32 s13, s6, 7
	s_addc_u32 s11, s7, 0
	s_add_i32 s13, s13, s12
	s_mul_i32 s12, s6, 7
	v_mov_b32_e32 v1, s12
	v_sub_co_u32_e32 v1, vcc, s4, v1
	s_cmp_lg_u64 vcc, 0
	s_subb_u32 s4, s5, s13
	v_subrev_co_u32_e32 v2, vcc, 7, v1
	s_cmp_lg_u64 vcc, 0
	s_subb_u32 s5, s4, 0
	v_readfirstlane_b32 s12, v2
	s_cmp_gt_u32 s12, 6
	s_cselect_b32 s12, -1, 0
	s_cmp_eq_u32 s5, 0
	s_cselect_b32 s5, s12, -1
	s_cmp_lg_u32 s5, 0
	s_cselect_b32 s5, s10, s8
	s_cselect_b32 s8, s11, s9
	v_readfirstlane_b32 s9, v1
	s_cmp_gt_u32 s9, 6
	s_cselect_b32 s9, -1, 0
	s_cmp_eq_u32 s4, 0
	s_cselect_b32 s4, s9, -1
	s_cmp_lg_u32 s4, 0
	s_cselect_b32 s5, s5, s6
	s_cselect_b32 s4, s8, s7
	s_add_u32 s38, s5, 1
	s_addc_u32 s39, s4, 0
	v_mov_b64_e32 v[2:3], s[38:39]
	v_cmp_lt_u64_e32 vcc, s[2:3], v[2:3]
	s_cbranch_vccnz .LBB0_2
; %bb.1:
	v_cvt_f32_u32_e32 v1, s38
	s_sub_i32 s4, 0, s38
	s_mov_b32 s27, s3
	v_rcp_iflag_f32_e32 v1, v1
	s_nop 0
	v_mul_f32_e32 v1, 0x4f7ffffe, v1
	v_cvt_u32_f32_e32 v1, v1
	s_nop 0
	v_readfirstlane_b32 s5, v1
	s_mul_i32 s4, s4, s5
	s_mul_hi_u32 s4, s5, s4
	s_add_i32 s5, s5, s4
	s_mul_hi_u32 s4, s2, s5
	s_mul_i32 s6, s4, s38
	s_sub_i32 s6, s2, s6
	s_add_i32 s5, s4, 1
	s_sub_i32 s7, s6, s38
	s_cmp_ge_u32 s6, s38
	s_cselect_b32 s4, s5, s4
	s_cselect_b32 s6, s7, s6
	s_add_i32 s5, s4, 1
	s_cmp_ge_u32 s6, s38
	s_cselect_b32 s26, s5, s4
.LBB0_2:
	s_load_dwordx4 s[8:11], s[0:1], 0x60
	s_load_dwordx4 s[16:19], s[22:23], 0x0
	;; [unrolled: 1-line block ×3, first 2 shown]
	s_load_dwordx2 s[82:83], s[0:1], 0x0
	s_load_dwordx4 s[12:15], s[0:1], 0x8
	s_mul_i32 s0, s26, s39
	s_mul_hi_u32 s1, s26, s38
	s_add_i32 s1, s1, s0
	s_mul_i32 s0, s26, s38
	s_sub_u32 s0, s2, s0
	s_subb_u32 s1, 0, s1
	s_mul_i32 s1, s1, 7
	s_mul_hi_u32 s24, s0, 7
	s_add_i32 s29, s24, s1
	s_mul_i32 s28, s0, 7
	s_waitcnt lgkmcnt(0)
	s_mul_i32 s0, s18, s29
	s_mul_hi_u32 s1, s18, s28
	s_add_i32 s0, s1, s0
	s_mul_i32 s1, s19, s28
	s_add_i32 s37, s0, s1
	s_mul_i32 s0, s6, s29
	s_mul_hi_u32 s1, s6, s28
	s_add_i32 s0, s1, s0
	s_mul_i32 s1, s7, s28
	s_add_i32 s25, s0, s1
	v_cmp_lt_u64_e64 s[0:1], s[14:15], 3
	s_mul_i32 s36, s18, s28
	s_mul_i32 s24, s6, s28
	s_and_b64 vcc, exec, s[0:1]
	s_cbranch_vccnz .LBB0_12
; %bb.3:
	s_add_u32 s40, s34, 16
	s_addc_u32 s41, s35, 0
	s_add_u32 s42, s22, 16
	s_addc_u32 s43, s23, 0
	;; [unrolled: 2-line block ×3, first 2 shown]
	s_mov_b64 s[44:45], 2
	s_mov_b32 s46, 0
	v_mov_b64_e32 v[2:3], s[14:15]
.LBB0_4:                                ; =>This Inner Loop Header: Depth=1
	s_load_dwordx2 s[48:49], s[20:21], 0x0
	s_waitcnt lgkmcnt(0)
	s_or_b64 s[0:1], s[26:27], s[48:49]
	s_mov_b32 s47, s1
	s_cmp_lg_u64 s[46:47], 0
	s_cbranch_scc0 .LBB0_9
; %bb.5:                                ;   in Loop: Header=BB0_4 Depth=1
	v_cvt_f32_u32_e32 v1, s48
	v_cvt_f32_u32_e32 v4, s49
	s_sub_u32 s0, 0, s48
	s_subb_u32 s1, 0, s49
	v_fmac_f32_e32 v1, 0x4f800000, v4
	v_rcp_f32_e32 v1, v1
	s_nop 0
	v_mul_f32_e32 v1, 0x5f7ffffc, v1
	v_mul_f32_e32 v4, 0x2f800000, v1
	v_trunc_f32_e32 v4, v4
	v_fmac_f32_e32 v1, 0xcf800000, v4
	v_cvt_u32_f32_e32 v4, v4
	v_cvt_u32_f32_e32 v1, v1
	v_readfirstlane_b32 s33, v4
	v_readfirstlane_b32 s47, v1
	s_mul_i32 s50, s0, s33
	s_mul_hi_u32 s52, s0, s47
	s_mul_i32 s51, s1, s47
	s_add_i32 s50, s52, s50
	s_mul_i32 s53, s0, s47
	s_add_i32 s50, s50, s51
	s_mul_hi_u32 s51, s47, s50
	s_mul_i32 s52, s47, s50
	s_mul_hi_u32 s47, s47, s53
	s_add_u32 s47, s47, s52
	s_addc_u32 s51, 0, s51
	s_mul_hi_u32 s54, s33, s53
	s_mul_i32 s53, s33, s53
	s_add_u32 s47, s47, s53
	s_mul_hi_u32 s52, s33, s50
	s_addc_u32 s47, s51, s54
	s_addc_u32 s51, s52, 0
	s_mul_i32 s50, s33, s50
	s_add_u32 s47, s47, s50
	s_addc_u32 s50, 0, s51
	v_add_co_u32_e32 v1, vcc, s47, v1
	s_cmp_lg_u64 vcc, 0
	s_addc_u32 s33, s33, s50
	v_readfirstlane_b32 s50, v1
	s_mul_i32 s47, s0, s33
	s_mul_hi_u32 s51, s0, s50
	s_add_i32 s47, s51, s47
	s_mul_i32 s1, s1, s50
	s_add_i32 s47, s47, s1
	s_mul_i32 s0, s0, s50
	s_mul_hi_u32 s51, s33, s0
	s_mul_i32 s52, s33, s0
	s_mul_i32 s54, s50, s47
	s_mul_hi_u32 s0, s50, s0
	s_mul_hi_u32 s53, s50, s47
	s_add_u32 s0, s0, s54
	s_addc_u32 s50, 0, s53
	s_add_u32 s0, s0, s52
	s_mul_hi_u32 s1, s33, s47
	s_addc_u32 s0, s50, s51
	s_addc_u32 s1, s1, 0
	s_mul_i32 s47, s33, s47
	s_add_u32 s0, s0, s47
	s_addc_u32 s1, 0, s1
	v_add_co_u32_e32 v1, vcc, s0, v1
	s_cmp_lg_u64 vcc, 0
	s_addc_u32 s0, s33, s1
	v_readfirstlane_b32 s47, v1
	s_mul_i32 s33, s26, s0
	s_mul_hi_u32 s50, s26, s47
	s_mul_hi_u32 s1, s26, s0
	s_add_u32 s33, s50, s33
	s_addc_u32 s1, 0, s1
	s_mul_hi_u32 s51, s27, s47
	s_mul_i32 s47, s27, s47
	s_add_u32 s33, s33, s47
	s_mul_hi_u32 s50, s27, s0
	s_addc_u32 s1, s1, s51
	s_addc_u32 s33, s50, 0
	s_mul_i32 s0, s27, s0
	s_add_u32 s47, s1, s0
	s_addc_u32 s33, 0, s33
	s_mul_i32 s0, s48, s33
	s_mul_hi_u32 s1, s48, s47
	s_add_i32 s0, s1, s0
	s_mul_i32 s1, s49, s47
	s_add_i32 s50, s0, s1
	s_mul_i32 s1, s48, s47
	v_mov_b32_e32 v1, s1
	s_sub_i32 s0, s27, s50
	v_sub_co_u32_e32 v1, vcc, s26, v1
	s_cmp_lg_u64 vcc, 0
	s_subb_u32 s51, s0, s49
	v_subrev_co_u32_e64 v4, s[0:1], s48, v1
	s_cmp_lg_u64 s[0:1], 0
	s_subb_u32 s0, s51, 0
	s_cmp_ge_u32 s0, s49
	v_readfirstlane_b32 s51, v4
	s_cselect_b32 s1, -1, 0
	s_cmp_ge_u32 s51, s48
	s_cselect_b32 s51, -1, 0
	s_cmp_eq_u32 s0, s49
	s_cselect_b32 s0, s51, s1
	s_add_u32 s1, s47, 1
	s_addc_u32 s51, s33, 0
	s_add_u32 s52, s47, 2
	s_addc_u32 s53, s33, 0
	s_cmp_lg_u32 s0, 0
	s_cselect_b32 s0, s52, s1
	s_cselect_b32 s1, s53, s51
	s_cmp_lg_u64 vcc, 0
	s_subb_u32 s50, s27, s50
	s_cmp_ge_u32 s50, s49
	v_readfirstlane_b32 s52, v1
	s_cselect_b32 s51, -1, 0
	s_cmp_ge_u32 s52, s48
	s_cselect_b32 s52, -1, 0
	s_cmp_eq_u32 s50, s49
	s_cselect_b32 s50, s52, s51
	s_cmp_lg_u32 s50, 0
	s_cselect_b32 s1, s1, s33
	s_cselect_b32 s0, s0, s47
	s_cbranch_execnz .LBB0_7
.LBB0_6:                                ;   in Loop: Header=BB0_4 Depth=1
	v_cvt_f32_u32_e32 v1, s48
	s_sub_i32 s0, 0, s48
	v_rcp_iflag_f32_e32 v1, v1
	s_nop 0
	v_mul_f32_e32 v1, 0x4f7ffffe, v1
	v_cvt_u32_f32_e32 v1, v1
	s_nop 0
	v_readfirstlane_b32 s1, v1
	s_mul_i32 s0, s0, s1
	s_mul_hi_u32 s0, s1, s0
	s_add_i32 s1, s1, s0
	s_mul_hi_u32 s0, s26, s1
	s_mul_i32 s33, s0, s48
	s_sub_i32 s33, s26, s33
	s_add_i32 s1, s0, 1
	s_sub_i32 s47, s33, s48
	s_cmp_ge_u32 s33, s48
	s_cselect_b32 s0, s1, s0
	s_cselect_b32 s33, s47, s33
	s_add_i32 s1, s0, 1
	s_cmp_ge_u32 s33, s48
	s_cselect_b32 s0, s1, s0
	s_mov_b32 s1, s46
.LBB0_7:                                ;   in Loop: Header=BB0_4 Depth=1
	s_mul_i32 s33, s48, s39
	s_mul_hi_u32 s39, s48, s38
	s_add_i32 s33, s39, s33
	s_mul_i32 s39, s49, s38
	s_add_i32 s39, s33, s39
	s_mul_i32 s33, s0, s49
	s_mul_hi_u32 s47, s0, s48
	s_load_dwordx2 s[50:51], s[42:43], 0x0
	s_add_i32 s33, s47, s33
	s_mul_i32 s47, s1, s48
	s_add_i32 s33, s33, s47
	s_mul_i32 s47, s0, s48
	s_sub_u32 s47, s26, s47
	s_subb_u32 s33, s27, s33
	s_waitcnt lgkmcnt(0)
	s_mul_i32 s26, s50, s33
	s_mul_hi_u32 s27, s50, s47
	s_mul_i32 s38, s48, s38
	s_add_i32 s48, s27, s26
	s_load_dwordx2 s[26:27], s[40:41], 0x0
	s_mul_i32 s49, s51, s47
	s_add_i32 s48, s48, s49
	s_mul_i32 s49, s50, s47
	s_add_u32 s36, s49, s36
	s_addc_u32 s37, s48, s37
	s_waitcnt lgkmcnt(0)
	s_mul_i32 s33, s26, s33
	s_mul_hi_u32 s48, s26, s47
	s_add_i32 s33, s48, s33
	s_mul_i32 s27, s27, s47
	s_add_i32 s33, s33, s27
	s_mul_i32 s26, s26, s47
	s_add_u32 s24, s26, s24
	s_addc_u32 s25, s33, s25
	s_add_u32 s44, s44, 1
	s_addc_u32 s45, s45, 0
	;; [unrolled: 2-line block ×4, first 2 shown]
	s_add_u32 s20, s20, 8
	v_cmp_ge_u64_e32 vcc, s[44:45], v[2:3]
	s_addc_u32 s21, s21, 0
	s_cbranch_vccnz .LBB0_10
; %bb.8:                                ;   in Loop: Header=BB0_4 Depth=1
	s_mov_b64 s[26:27], s[0:1]
	s_branch .LBB0_4
.LBB0_9:                                ;   in Loop: Header=BB0_4 Depth=1
                                        ; implicit-def: $sgpr0_sgpr1
	s_branch .LBB0_6
.LBB0_10:
	v_mov_b64_e32 v[2:3], s[38:39]
	v_cmp_lt_u64_e32 vcc, s[2:3], v[2:3]
	s_mov_b64 s[26:27], 0
	s_cbranch_vccnz .LBB0_12
; %bb.11:
	v_cvt_f32_u32_e32 v1, s38
	s_sub_i32 s0, 0, s38
	v_rcp_iflag_f32_e32 v1, v1
	s_nop 0
	v_mul_f32_e32 v1, 0x4f7ffffe, v1
	v_cvt_u32_f32_e32 v1, v1
	s_nop 0
	v_readfirstlane_b32 s1, v1
	s_mul_i32 s0, s0, s1
	s_mul_hi_u32 s0, s1, s0
	s_add_i32 s1, s1, s0
	s_mul_hi_u32 s0, s2, s1
	s_mul_i32 s3, s0, s38
	s_sub_i32 s2, s2, s3
	s_add_i32 s1, s0, 1
	s_sub_i32 s3, s2, s38
	s_cmp_ge_u32 s2, s38
	s_cselect_b32 s0, s1, s0
	s_cselect_b32 s2, s3, s2
	s_add_i32 s1, s0, 1
	s_cmp_ge_u32 s2, s38
	s_cselect_b32 s26, s1, s0
.LBB0_12:
	s_lshl_b64 s[20:21], s[14:15], 3
	s_add_u32 s14, s34, s20
	s_addc_u32 s15, s35, s21
	v_mul_u32_u24_e32 v1, 0x2493, v0
	s_add_u32 s0, s28, 7
	v_lshrrev_b32_e32 v4, 16, v1
	s_addc_u32 s1, s29, 0
	v_mov_b64_e32 v[2:3], s[30:31]
	v_mul_lo_u16_e32 v1, 7, v4
	v_cmp_le_u64_e32 vcc, s[0:1], v[2:3]
	v_sub_u16_e32 v2, v0, v1
	s_mov_b32 s0, 0
	v_lshlrev_b32_e32 v1, 3, v4
	v_mov_b32_e32 v3, s0
	v_accvgpr_write_b32 a5, v1
	v_add_u32_e32 v1, 17, v4
	v_accvgpr_write_b32 a4, v2
	v_lshl_add_u64 v[2:3], s[28:29], 0, v[2:3]
	v_accvgpr_write_b32 a3, v1
	v_add_u32_e32 v1, 34, v4
	v_cmp_gt_u64_e64 s[0:1], s[30:31], v[2:3]
	v_accvgpr_write_b32 a2, v1
	v_add_u32_e32 v1, 51, v4
	s_or_b64 s[2:3], vcc, s[0:1]
	v_accvgpr_write_b32 a0, v4
	v_accvgpr_write_b32 a1, v1
	s_and_saveexec_b64 s[0:1], s[2:3]
	s_cbranch_execz .LBB0_14
; %bb.13:
	s_add_u32 s20, s22, s20
	s_addc_u32 s21, s23, s21
	s_load_dwordx2 s[20:21], s[20:21], 0x0
	v_accvgpr_read_b32 v46, a4
	v_mad_u64_u32 v[2:3], s[22:23], s18, v46, 0
	v_mov_b32_e32 v4, v3
	s_waitcnt lgkmcnt(0)
	s_mul_i32 s18, s21, s26
	s_mul_hi_u32 s21, s20, s26
	s_add_i32 s21, s21, s18
	v_mad_u64_u32 v[4:5], s[18:19], s19, v46, v[4:5]
	v_accvgpr_read_b32 v44, a0
	v_mov_b32_e32 v3, v4
	v_mad_u64_u32 v[4:5], s[18:19], s16, v44, 0
	v_mov_b32_e32 v6, v5
	s_mul_i32 s20, s20, s26
	v_mad_u64_u32 v[6:7], s[18:19], s17, v44, v[6:7]
	s_lshl_b64 s[18:19], s[20:21], 3
	s_add_u32 s18, s8, s18
	s_addc_u32 s19, s9, s19
	s_lshl_b64 s[8:9], s[36:37], 3
	s_add_u32 s8, s18, s8
	s_addc_u32 s9, s19, s9
	v_accvgpr_read_b32 v1, a3
	v_mov_b32_e32 v5, v6
	v_lshl_add_u64 v[2:3], v[2:3], 3, s[8:9]
	v_mad_u64_u32 v[6:7], s[8:9], s16, v1, 0
	v_mov_b32_e32 v8, v7
	v_mad_u64_u32 v[8:9], s[8:9], s17, v1, v[8:9]
	v_accvgpr_read_b32 v1, a2
	v_mov_b32_e32 v7, v8
	v_mad_u64_u32 v[8:9], s[8:9], s16, v1, 0
	v_mov_b32_e32 v10, v9
	v_mad_u64_u32 v[10:11], s[8:9], s17, v1, v[10:11]
	v_accvgpr_read_b32 v1, a1
	v_mov_b32_e32 v9, v10
	v_mad_u64_u32 v[10:11], s[8:9], s16, v1, 0
	v_mov_b32_e32 v12, v11
	v_mad_u64_u32 v[12:13], s[8:9], s17, v1, v[12:13]
	v_lshl_add_u64 v[4:5], v[4:5], 3, v[2:3]
	v_mov_b32_e32 v11, v12
	v_add_u32_e32 v1, 0x44, v44
	v_lshl_add_u64 v[6:7], v[6:7], 3, v[2:3]
	v_lshl_add_u64 v[8:9], v[8:9], 3, v[2:3]
	v_lshl_add_u64 v[10:11], v[10:11], 3, v[2:3]
	global_load_dwordx2 v[12:13], v[4:5], off
	global_load_dwordx2 v[14:15], v[6:7], off
	global_load_dwordx2 v[16:17], v[8:9], off
	global_load_dwordx2 v[18:19], v[10:11], off
	v_mad_u64_u32 v[4:5], s[8:9], s16, v1, 0
	v_mov_b32_e32 v6, v5
	v_mad_u64_u32 v[6:7], s[8:9], s17, v1, v[6:7]
	v_add_u32_e32 v1, 0x55, v44
	v_mov_b32_e32 v5, v6
	v_mad_u64_u32 v[6:7], s[8:9], s16, v1, 0
	v_mov_b32_e32 v8, v7
	v_mad_u64_u32 v[8:9], s[8:9], s17, v1, v[8:9]
	v_add_u32_e32 v1, 0x66, v44
	v_mov_b32_e32 v7, v8
	v_mad_u64_u32 v[8:9], s[8:9], s16, v1, 0
	v_mov_b32_e32 v10, v9
	v_mad_u64_u32 v[10:11], s[8:9], s17, v1, v[10:11]
	v_add_u32_e32 v1, 0x77, v44
	v_mov_b32_e32 v9, v10
	v_mad_u64_u32 v[10:11], s[8:9], s16, v1, 0
	v_mov_b32_e32 v20, v11
	v_mad_u64_u32 v[20:21], s[8:9], s17, v1, v[20:21]
	v_lshl_add_u64 v[4:5], v[4:5], 3, v[2:3]
	v_mov_b32_e32 v11, v20
	v_add_u32_e32 v1, 0x88, v44
	v_lshl_add_u64 v[6:7], v[6:7], 3, v[2:3]
	v_lshl_add_u64 v[8:9], v[8:9], 3, v[2:3]
	v_lshl_add_u64 v[10:11], v[10:11], 3, v[2:3]
	global_load_dwordx2 v[20:21], v[4:5], off
	global_load_dwordx2 v[22:23], v[6:7], off
	global_load_dwordx2 v[24:25], v[8:9], off
	global_load_dwordx2 v[26:27], v[10:11], off
	v_mad_u64_u32 v[4:5], s[8:9], s16, v1, 0
	v_mov_b32_e32 v6, v5
	v_mad_u64_u32 v[6:7], s[8:9], s17, v1, v[6:7]
	v_add_u32_e32 v1, 0x99, v44
	v_mov_b32_e32 v5, v6
	v_mad_u64_u32 v[6:7], s[8:9], s16, v1, 0
	v_mov_b32_e32 v8, v7
	v_mad_u64_u32 v[8:9], s[8:9], s17, v1, v[8:9]
	v_add_u32_e32 v1, 0xaa, v44
	v_mov_b32_e32 v7, v8
	v_mad_u64_u32 v[8:9], s[8:9], s16, v1, 0
	v_mov_b32_e32 v10, v9
	v_mad_u64_u32 v[10:11], s[8:9], s17, v1, v[10:11]
	v_add_u32_e32 v1, 0xbb, v44
	;; [unrolled: 28-line block ×3, first 2 shown]
	v_mov_b32_e32 v9, v10
	v_mad_u64_u32 v[10:11], s[8:9], s16, v1, 0
	v_mov_b32_e32 v36, v11
	v_mad_u64_u32 v[36:37], s[8:9], s17, v1, v[36:37]
	v_lshl_add_u64 v[4:5], v[4:5], 3, v[2:3]
	v_mov_b32_e32 v11, v36
	v_lshl_add_u64 v[6:7], v[6:7], 3, v[2:3]
	v_lshl_add_u64 v[8:9], v[8:9], 3, v[2:3]
	;; [unrolled: 1-line block ×3, first 2 shown]
	global_load_dwordx2 v[36:37], v[4:5], off
	global_load_dwordx2 v[38:39], v[6:7], off
	;; [unrolled: 1-line block ×4, first 2 shown]
	v_add_u32_e32 v1, 0x110, v44
	v_mad_u64_u32 v[4:5], s[8:9], s16, v1, 0
	v_mov_b32_e32 v6, v5
	v_mad_u64_u32 v[6:7], s[8:9], s17, v1, v[6:7]
	v_mov_b32_e32 v5, v6
	v_lshl_add_u64 v[2:3], v[4:5], 3, v[2:3]
	global_load_dwordx2 v[2:3], v[2:3], off
	v_mul_u32_u24_e32 v1, 0x908, v46
	v_accvgpr_read_b32 v4, a5
	v_add3_u32 v1, 0, v1, v4
	s_waitcnt vmcnt(15)
	ds_write2_b64 v1, v[12:13], v[14:15] offset1:17
	s_waitcnt vmcnt(13)
	ds_write2_b64 v1, v[16:17], v[18:19] offset0:34 offset1:51
	s_waitcnt vmcnt(11)
	ds_write2_b64 v1, v[20:21], v[22:23] offset0:68 offset1:85
	;; [unrolled: 2-line block ×7, first 2 shown]
	s_waitcnt vmcnt(0)
	ds_write_b64 v1, v[2:3] offset:2176
.LBB0_14:
	s_or_b64 exec, exec, s[0:1]
	s_movk_i32 s0, 0xf10
	v_mul_u32_u24_sdwa v1, v0, s0 dst_sel:DWORD dst_unused:UNUSED_PAD src0_sel:WORD_0 src1_sel:DWORD
	s_add_u32 s0, 0, 0x92481000
	s_addc_u32 s1, 0, 0x64
	s_add_i32 s1, s1, 0x249248c0
	s_mul_hi_u32 s17, s0, -7
	s_sub_i32 s17, s17, s0
	s_mul_i32 s18, s1, -7
	s_load_dwordx2 s[8:9], s[14:15], 0x0
	s_mul_i32 s14, s0, -7
	s_add_i32 s17, s17, s18
	s_mul_hi_u32 s15, s1, s14
	s_mul_i32 s16, s1, s14
	s_mul_i32 s19, s0, s17
	s_mul_hi_u32 s14, s0, s14
	s_mul_hi_u32 s18, s0, s17
	s_add_u32 s14, s14, s19
	s_addc_u32 s18, 0, s18
	s_add_u32 s14, s14, s16
	s_mul_hi_u32 s19, s1, s17
	s_addc_u32 s14, s18, s15
	s_addc_u32 s15, s19, 0
	s_mul_i32 s16, s1, s17
	s_add_u32 s14, s14, s16
	v_lshrrev_b32_e32 v2, 16, v1
	v_mov_b32_e32 v1, s14
	s_addc_u32 s15, 0, s15
	v_add_co_u32_e32 v1, vcc, s0, v1
	v_mov_b32_e32 v3, 0
	s_cmp_lg_u64 vcc, 0
	v_lshl_add_u64 v[50:51], s[28:29], 0, v[2:3]
	s_addc_u32 s14, s1, s15
	v_mad_u64_u32 v[4:5], s[0:1], v50, s14, 0
	v_mul_hi_u32 v6, v50, v1
	v_mov_b32_e32 v7, v3
	v_lshl_add_u64 v[4:5], v[6:7], 0, v[4:5]
	v_mad_u64_u32 v[8:9], s[0:1], v51, v1, 0
	v_add_co_u32_e32 v1, vcc, v4, v8
	v_mad_u64_u32 v[6:7], s[0:1], v51, s14, 0
	s_nop 0
	v_addc_co_u32_e32 v4, vcc, v5, v9, vcc
	v_mov_b32_e32 v5, v3
	s_nop 0
	v_addc_co_u32_e32 v7, vcc, 0, v7, vcc
	v_lshl_add_u64 v[4:5], v[4:5], 0, v[6:7]
	v_mad_u64_u32 v[6:7], s[0:1], v4, 7, 0
	v_mov_b32_e32 v4, v7
	v_mad_u64_u32 v[4:5], s[0:1], v5, 7, v[4:5]
	v_sub_co_u32_e32 v1, vcc, v50, v6
	v_mul_lo_u16_e32 v2, 17, v2
	s_nop 0
	v_subb_co_u32_e32 v3, vcc, v51, v4, vcc
	v_subrev_co_u32_e32 v4, vcc, 7, v1
	v_cmp_lt_u32_e64 s[0:1], 6, v4
	s_nop 0
	v_subbrev_co_u32_e32 v5, vcc, 0, v3, vcc
	v_cmp_eq_u32_e32 vcc, 0, v5
	v_cndmask_b32_e64 v5, 0, -1, s[0:1]
	v_cmp_lt_u32_e64 s[0:1], 6, v1
	v_cndmask_b32_e32 v5, -1, v5, vcc
	v_cmp_ne_u32_e32 vcc, 0, v5
	v_add_u32_e32 v5, -7, v4
	v_sub_u16_e32 v51, v0, v2
	v_cndmask_b32_e32 v4, v4, v5, vcc
	v_cmp_eq_u32_e32 vcc, 0, v3
	v_cndmask_b32_e64 v3, 0, -1, s[0:1]
	v_lshlrev_b32_e32 v2, 3, v51
	v_cndmask_b32_e32 v3, -1, v3, vcc
	v_cmp_ne_u32_e32 vcc, 0, v3
	s_waitcnt lgkmcnt(0)
	s_barrier
	v_cndmask_b32_e32 v1, v1, v4, vcc
	v_mul_u32_u24_e32 v1, 0x121, v1
	v_lshlrev_b32_e32 v0, 3, v1
	v_add_u32_e32 v1, 0, v0
	v_add3_u32 v116, 0, v2, v0
	v_add_u32_e32 v10, v1, v2
	v_add_u32_e32 v0, 0x400, v116
	ds_read2_b64 v[2:5], v116 offset0:85 offset1:102
	ds_read2_b64 v[6:9], v116 offset0:119 offset1:136
	;; [unrolled: 1-line block ×6, first 2 shown]
	ds_read_b64 v[38:39], v10
	ds_read2_b64 v[30:33], v116 offset0:17 offset1:34
	ds_read2_b64 v[34:37], v116 offset0:51 offset1:68
	v_accvgpr_write_b32 a6, v10
	s_waitcnt lgkmcnt(5)
	v_pk_add_f32 v[124:125], v[20:21], v[2:3]
	v_pk_add_f32 v[48:49], v[2:3], v[20:21] neg_lo:[0,1] neg_hi:[0,1]
	s_waitcnt lgkmcnt(1)
	v_pk_add_f32 v[132:133], v[28:29], v[30:31]
	v_pk_add_f32 v[10:11], v[30:31], v[28:29] neg_lo:[0,1] neg_hi:[0,1]
	v_pk_add_f32 v[30:31], v[38:39], v[30:31]
	s_mov_b32 s22, 0xbeb8f4ab
	v_pk_add_f32 v[30:31], v[30:31], v[32:33]
	s_movk_i32 s0, 0x88
	s_waitcnt lgkmcnt(0)
	v_pk_add_f32 v[30:31], v[30:31], v[34:35]
	s_mov_b32 s23, 0x3f6eb680
	v_pk_add_f32 v[30:31], v[30:31], v[36:37]
	v_mad_u32_u24 v117, v51, s0, v1
	v_pk_add_f32 v[2:3], v[30:31], v[2:3]
	v_mov_b32_e32 v13, v133
	v_pk_add_f32 v[2:3], v[2:3], v[4:5]
	v_mov_b32_e32 v133, v10
	v_pk_add_f32 v[2:3], v[2:3], v[6:7]
	s_mov_b32 s52, s23
	v_pk_add_f32 v[2:3], v[2:3], v[8:9]
	s_mov_b32 s53, s22
	;; [unrolled: 2-line block ×3, first 2 shown]
	v_pk_add_f32 v[2:3], v[2:3], v[16:17]
	v_pk_add_f32 v[94:95], v[18:19], v[4:5]
	;; [unrolled: 1-line block ×3, first 2 shown]
	v_pk_add_f32 v[54:55], v[4:5], v[18:19] neg_lo:[0,1] neg_hi:[0,1]
	v_pk_add_f32 v[2:3], v[2:3], v[20:21]
	v_pk_add_f32 v[130:131], v[26:27], v[32:33]
	;; [unrolled: 1-line block ×3, first 2 shown]
	v_pk_add_f32 v[40:41], v[32:33], v[26:27] neg_lo:[0,1] neg_hi:[0,1]
	v_pk_add_f32 v[2:3], v[2:3], v[24:25]
	s_mov_b32 s1, 0x3f3d2fb0
	v_pk_add_f32 v[2:3], v[2:3], v[26:27]
	v_mov_b32_e32 v12, v11
	v_pk_add_f32 v[4:5], v[2:3], v[28:29]
	v_pk_mul_f32 v[2:3], v[132:133], s[52:53]
	v_mov_b32_e32 v11, v131
	v_accvgpr_write_b32 a9, v3
	v_mov_b32_e32 v131, v40
	s_mov_b32 s64, s1
	s_mov_b32 s65, s0
	;; [unrolled: 1-line block ×3, first 2 shown]
	v_pk_add_f32 v[90:91], v[16:17], v[6:7]
	v_pk_add_f32 v[44:45], v[6:7], v[16:17] neg_lo:[0,1] neg_hi:[0,1]
	v_pk_add_f32 v[128:129], v[24:25], v[34:35]
	v_pk_add_f32 v[42:43], v[34:35], v[24:25] neg_lo:[0,1] neg_hi:[0,1]
	v_pk_fma_f32 v[6:7], v[12:13], s[22:23], v[2:3] neg_lo:[1,0,0] neg_hi:[1,0,0]
	v_pk_fma_f32 v[112:113], v[12:13], s[22:23], v[2:3]
	v_accvgpr_write_b32 a8, v2
	v_mov_b32_e32 v10, v41
	v_pk_mul_f32 v[2:3], v[130:131], s[64:65]
	s_mov_b32 s15, 0x3ee437d1
	v_pk_add_f32 v[88:89], v[14:15], v[8:9]
	v_pk_add_f32 v[0:1], v[8:9], v[14:15] neg_lo:[0,1] neg_hi:[0,1]
	v_mov_b32_e32 v7, v113
	v_pk_fma_f32 v[8:9], v[10:11], s[0:1], v[2:3] neg_lo:[1,0,0] neg_hi:[1,0,0]
	v_pk_fma_f32 v[104:105], v[10:11], s[0:1], v[2:3]
	v_accvgpr_write_b32 a11, v3
	v_mov_b32_e32 v19, v129
	v_mov_b32_e32 v129, v42
	s_mov_b32 s70, s15
	s_mov_b32 s71, s14
	;; [unrolled: 1-line block ×3, first 2 shown]
	v_pk_add_f32 v[126:127], v[22:23], v[36:37]
	v_pk_add_f32 v[46:47], v[36:37], v[22:23] neg_lo:[0,1] neg_hi:[0,1]
	v_pk_add_f32 v[6:7], v[38:39], v[6:7]
	v_accvgpr_write_b32 a10, v2
	v_mov_b32_e32 v9, v105
	v_mov_b32_e32 v18, v43
	v_pk_mul_f32 v[2:3], v[128:129], s[70:71]
	s_mov_b32 s17, 0x3dbcf732
	v_pk_add_f32 v[6:7], v[8:9], v[6:7]
	v_pk_fma_f32 v[8:9], v[18:19], s[14:15], v[2:3] neg_lo:[1,0,0] neg_hi:[1,0,0]
	v_pk_fma_f32 v[52:53], v[18:19], s[14:15], v[2:3]
	v_accvgpr_write_b32 a13, v3
	v_mov_b32_e32 v25, v127
	v_mov_b32_e32 v127, v46
	s_mov_b32 s58, s17
	s_mov_b32 s59, s16
	s_mov_b32 s18, 0xbf763a35
	v_accvgpr_write_b32 a12, v2
	v_mov_b32_e32 v9, v53
	v_mov_b32_e32 v24, v47
	v_pk_mul_f32 v[2:3], v[126:127], s[58:59]
	s_mov_b32 s19, 0xbe8c1d8e
	v_pk_add_f32 v[6:7], v[8:9], v[6:7]
	v_pk_fma_f32 v[8:9], v[24:25], s[16:17], v[2:3] neg_lo:[1,0,0] neg_hi:[1,0,0]
	v_pk_fma_f32 v[40:41], v[24:25], s[16:17], v[2:3]
	v_accvgpr_write_b32 a15, v3
	v_mov_b32_e32 v31, v125
	v_mov_b32_e32 v125, v48
	s_mov_b32 s48, s19
	s_mov_b32 s49, s18
	s_mov_b32 s20, 0xbf4c4adb
	;; [unrolled: 14-line block ×4, first 2 shown]
	v_accvgpr_write_b32 a18, v2
	v_mov_b32_e32 v9, v33
	v_mov_b32_e32 v42, v45
	v_pk_mul_f32 v[2:3], v[90:91], s[54:55]
	s_mov_b32 s31, 0xbf7ba420
	v_pk_add_f32 v[6:7], v[8:9], v[6:7]
	v_pk_fma_f32 v[8:9], v[42:43], s[28:29], v[2:3] neg_lo:[1,0,0] neg_hi:[1,0,0]
	v_pk_fma_f32 v[44:45], v[42:43], s[28:29], v[2:3]
	v_mov_b32_e32 v49, v89
	v_mov_b32_e32 v89, v0
	s_mov_b32 s62, s31
	s_mov_b32 s63, s30
	v_mov_b32_e32 v9, v45
	v_mov_b32_e32 v48, v1
	v_pk_mul_f32 v[0:1], v[88:89], s[62:63]
	v_pk_add_f32 v[6:7], v[8:9], v[6:7]
	v_pk_fma_f32 v[8:9], v[48:49], s[30:31], v[0:1] neg_lo:[1,0,0] neg_hi:[1,0,0]
	v_pk_fma_f32 v[110:111], v[48:49], s[30:31], v[0:1]
	v_accvgpr_write_b32 a23, v1
	v_accvgpr_write_b32 a22, v0
	v_mov_b32_e32 v9, v111
	v_pk_mul_f32 v[0:1], v[132:133], s[64:65]
	v_pk_add_f32 v[6:7], v[8:9], v[6:7]
	v_accvgpr_write_b32 a25, v1
	s_barrier
	ds_write2_b64 v117, v[4:5], v[6:7] offset1:1
	v_pk_fma_f32 v[4:5], v[12:13], s[0:1], v[0:1] neg_lo:[1,0,0] neg_hi:[1,0,0]
	v_pk_fma_f32 v[54:55], v[12:13], s[0:1], v[0:1]
	v_accvgpr_write_b32 a24, v0
	v_pk_mul_f32 v[0:1], v[130:131], s[58:59]
	s_mov_b32 s34, 0x3f06c442
	v_accvgpr_write_b32 a27, v1
	v_pk_fma_f32 v[6:7], v[10:11], s[16:17], v[0:1] neg_lo:[1,0,0] neg_hi:[1,0,0]
	v_pk_fma_f32 v[56:57], v[10:11], s[16:17], v[0:1]
	v_accvgpr_write_b32 a26, v0
	v_pk_mul_f32 v[0:1], v[128:129], s[50:51]
	s_mov_b32 s74, s29
	v_accvgpr_write_b32 a29, v1
	;; [unrolled: 6-line block ×3, first 2 shown]
	v_pk_fma_f32 v[22:23], v[24:25], s[30:31], v[0:1] neg_lo:[1,0,0] neg_hi:[1,0,0]
	v_pk_fma_f32 v[60:61], v[24:25], s[30:31], v[0:1]
	v_accvgpr_write_b32 a30, v0
	v_pk_mul_f32 v[0:1], v[124:125], s[74:75]
	s_mov_b32 s36, 0x3f763a35
	s_mov_b32 s35, s29
	v_accvgpr_write_b32 a33, v1
	s_mov_b32 s72, s19
	s_mov_b32 s73, s36
	v_pk_fma_f32 v[28:29], v[30:31], s[34:35], v[0:1] neg_lo:[1,0,0] neg_hi:[1,0,0]
	v_pk_fma_f32 v[62:63], v[30:31], s[34:35], v[0:1]
	v_accvgpr_write_b32 a32, v0
	v_pk_mul_f32 v[0:1], v[94:95], s[72:73]
	s_mov_b32 s38, 0x3f65296c
	s_mov_b32 s37, s19
	v_accvgpr_write_b32 a35, v1
	s_mov_b32 s56, s15
	s_mov_b32 s57, s38
	v_mov_b32_e32 v5, v55
	v_pk_fma_f32 v[86:87], v[36:37], s[36:37], v[0:1] neg_lo:[1,0,0] neg_hi:[1,0,0]
	v_pk_fma_f32 v[68:69], v[36:37], s[36:37], v[0:1]
	v_accvgpr_write_b32 a34, v0
	v_pk_mul_f32 v[0:1], v[90:91], s[56:57]
	s_mov_b32 s40, 0x3eb8f4ab
	v_mov_b32_e32 v7, v57
	s_mov_b32 s39, s15
	v_accvgpr_write_b32 a37, v1
	s_mov_b32 s60, s23
	s_mov_b32 s61, s40
	v_pk_add_f32 v[4:5], v[38:39], v[4:5]
	v_mov_b32_e32 v9, v59
	v_pk_fma_f32 v[92:93], v[42:43], s[38:39], v[0:1] neg_lo:[1,0,0] neg_hi:[1,0,0]
	v_pk_fma_f32 v[76:77], v[42:43], s[38:39], v[0:1]
	v_accvgpr_write_b32 a36, v0
	v_pk_mul_f32 v[0:1], v[88:89], s[60:61]
	v_pk_add_f32 v[4:5], v[6:7], v[4:5]
	v_mov_b32_e32 v23, v61
	s_mov_b32 s41, s23
	v_accvgpr_write_b32 a39, v1
	v_pk_add_f32 v[4:5], v[8:9], v[4:5]
	v_mov_b32_e32 v29, v63
	v_pk_fma_f32 v[96:97], v[48:49], s[40:41], v[0:1] neg_lo:[1,0,0] neg_hi:[1,0,0]
	v_pk_fma_f32 v[80:81], v[48:49], s[40:41], v[0:1]
	v_accvgpr_write_b32 a38, v0
	v_pk_add_f32 v[4:5], v[22:23], v[4:5]
	v_pk_mul_f32 v[0:1], v[132:133], s[70:71]
	v_mov_b32_e32 v87, v69
	v_pk_add_f32 v[4:5], v[28:29], v[4:5]
	v_accvgpr_write_b32 a41, v1
	v_pk_add_f32 v[4:5], v[86:87], v[4:5]
	v_pk_fma_f32 v[6:7], v[12:13], s[14:15], v[0:1] neg_lo:[1,0,0] neg_hi:[1,0,0]
	v_pk_fma_f32 v[86:87], v[12:13], s[14:15], v[0:1]
	v_accvgpr_write_b32 a40, v0
	v_pk_mul_f32 v[0:1], v[130:131], s[50:51]
	s_mov_b32 s42, 0x3e3c28d5
	v_mov_b32_e32 v93, v77
	v_accvgpr_write_b32 a43, v1
	s_mov_b32 s80, s31
	s_mov_b32 s81, s42
	v_mov_b32_e32 v97, v81
	v_pk_add_f32 v[4:5], v[92:93], v[4:5]
	v_mov_b32_e32 v7, v87
	v_pk_fma_f32 v[8:9], v[10:11], s[20:21], v[0:1] neg_lo:[1,0,0] neg_hi:[1,0,0]
	v_pk_fma_f32 v[92:93], v[10:11], s[20:21], v[0:1]
	v_accvgpr_write_b32 a42, v0
	s_mov_b32 s43, s31
	v_pk_mul_f32 v[0:1], v[128:129], s[80:81]
	s_mov_b32 s44, 0x3f2c7751
	v_pk_add_f32 v[4:5], v[96:97], v[4:5]
	v_mov_b32_e32 v9, v93
	v_pk_fma_f32 v[134:135], v[18:19], s[42:43], v[0:1] neg_lo:[1,0,0] neg_hi:[1,0,0]
	v_pk_fma_f32 v[96:97], v[18:19], s[42:43], v[0:1]
	v_pk_mul_f32 v[46:47], v[126:127], s[72:73]
	s_mov_b32 s68, s1
	s_mov_b32 s69, s44
	v_pk_add_f32 v[6:7], v[38:39], v[6:7]
	v_mov_b32_e32 v135, v97
	v_pk_fma_f32 v[136:137], v[24:25], s[36:37], v[46:47] neg_lo:[1,0,0] neg_hi:[1,0,0]
	v_pk_fma_f32 v[98:99], v[24:25], s[36:37], v[46:47]
	s_mov_b32 s45, s1
	v_pk_mul_f32 v[28:29], v[124:125], s[68:69]
	v_pk_add_f32 v[6:7], v[8:9], v[6:7]
	v_mov_b32_e32 v137, v99
	v_pk_fma_f32 v[138:139], v[30:31], s[44:45], v[28:29] neg_lo:[1,0,0] neg_hi:[1,0,0]
	v_pk_fma_f32 v[102:103], v[30:31], s[44:45], v[28:29]
	v_pk_mul_f32 v[118:119], v[94:95], s[52:53]
	v_pk_add_f32 v[6:7], v[134:135], v[6:7]
	v_mov_b32_e32 v139, v103
	v_pk_fma_f32 v[140:141], v[36:37], s[22:23], v[118:119] neg_lo:[1,0,0] neg_hi:[1,0,0]
	v_pk_fma_f32 v[106:107], v[36:37], s[22:23], v[118:119]
	;; [unrolled: 5-line block ×4, first 2 shown]
	v_pk_add_f32 v[6:7], v[140:141], v[6:7]
	v_mov_b32_e32 v145, v115
	v_pk_add_f32 v[6:7], v[142:143], v[6:7]
	v_pk_mul_f32 v[146:147], v[132:133], s[58:59]
	v_pk_add_f32 v[6:7], v[144:145], v[6:7]
	ds_write2_b64 v117, v[4:5], v[6:7] offset0:2 offset1:3
	v_pk_fma_f32 v[4:5], v[12:13], s[16:17], v[146:147] neg_lo:[1,0,0] neg_hi:[1,0,0]
	v_pk_fma_f32 v[134:135], v[12:13], s[16:17], v[146:147]
	v_pk_mul_f32 v[148:149], v[130:131], s[62:63]
	v_mov_b32_e32 v5, v135
	v_pk_fma_f32 v[6:7], v[10:11], s[30:31], v[148:149] neg_lo:[1,0,0] neg_hi:[1,0,0]
	v_pk_fma_f32 v[136:137], v[10:11], s[30:31], v[148:149]
	v_pk_mul_f32 v[152:153], v[128:129], s[72:73]
	v_mov_b32_e32 v7, v137
	v_pk_fma_f32 v[8:9], v[18:19], s[36:37], v[152:153] neg_lo:[1,0,0] neg_hi:[1,0,0]
	v_pk_fma_f32 v[138:139], v[18:19], s[36:37], v[152:153]
	v_pk_mul_f32 v[154:155], v[126:127], s[60:61]
	v_pk_add_f32 v[4:5], v[38:39], v[4:5]
	v_mov_b32_e32 v9, v139
	v_pk_fma_f32 v[166:167], v[24:25], s[40:41], v[154:155] neg_lo:[1,0,0] neg_hi:[1,0,0]
	v_pk_fma_f32 v[140:141], v[24:25], s[40:41], v[154:155]
	v_pk_mul_f32 v[158:159], v[124:125], s[70:71]
	s_mov_b32 s46, 0x3f4c4adb
	v_pk_add_f32 v[4:5], v[6:7], v[4:5]
	v_mov_b32_e32 v167, v141
	v_pk_fma_f32 v[168:169], v[30:31], s[14:15], v[158:159] neg_lo:[1,0,0] neg_hi:[1,0,0]
	v_pk_fma_f32 v[142:143], v[30:31], s[14:15], v[158:159]
	v_pk_mul_f32 v[160:161], v[94:95], s[54:55]
	s_mov_b32 s76, s21
	s_mov_b32 s77, s46
	v_pk_add_f32 v[4:5], v[8:9], v[4:5]
	v_pk_mul_f32 v[178:179], v[132:133], s[48:49]
	v_mov_b32_e32 v169, v143
	v_pk_fma_f32 v[170:171], v[36:37], s[28:29], v[160:161] neg_lo:[1,0,0] neg_hi:[1,0,0]
	v_pk_fma_f32 v[144:145], v[36:37], s[28:29], v[160:161]
	s_mov_b32 s47, s21
	v_pk_mul_f32 v[162:163], v[90:91], s[76:77]
	v_pk_add_f32 v[4:5], v[166:167], v[4:5]
	v_pk_fma_f32 v[6:7], v[12:13], s[18:19], v[178:179] neg_lo:[1,0,0] neg_hi:[1,0,0]
	v_pk_fma_f32 v[166:167], v[12:13], s[18:19], v[178:179]
	v_pk_mul_f32 v[180:181], v[130:131], s[74:75]
	v_mov_b32_e32 v171, v145
	v_pk_fma_f32 v[172:173], v[42:43], s[46:47], v[162:163] neg_lo:[1,0,0] neg_hi:[1,0,0]
	v_pk_fma_f32 v[150:151], v[42:43], s[46:47], v[162:163]
	v_pk_mul_f32 v[164:165], v[88:89], s[68:69]
	v_pk_add_f32 v[4:5], v[168:169], v[4:5]
	v_mov_b32_e32 v7, v167
	v_pk_fma_f32 v[8:9], v[10:11], s[34:35], v[180:181] neg_lo:[1,0,0] neg_hi:[1,0,0]
	v_pk_fma_f32 v[168:169], v[10:11], s[34:35], v[180:181]
	v_pk_mul_f32 v[184:185], v[128:129], s[68:69]
	v_mov_b32_e32 v173, v151
	v_pk_fma_f32 v[174:175], v[48:49], s[44:45], v[164:165] neg_lo:[1,0,0] neg_hi:[1,0,0]
	v_pk_fma_f32 v[156:157], v[48:49], s[44:45], v[164:165]
	v_pk_add_f32 v[4:5], v[170:171], v[4:5]
	v_mov_b32_e32 v9, v169
	v_pk_fma_f32 v[198:199], v[18:19], s[44:45], v[184:185] neg_lo:[1,0,0] neg_hi:[1,0,0]
	v_pk_fma_f32 v[170:171], v[18:19], s[44:45], v[184:185]
	v_pk_mul_f32 v[186:187], v[126:127], s[70:71]
	s_mov_b32 s66, 0x3f7ee86f
	v_pk_add_f32 v[6:7], v[38:39], v[6:7]
	v_mov_b32_e32 v175, v157
	v_pk_add_f32 v[4:5], v[172:173], v[4:5]
	v_mov_b32_e32 v199, v171
	v_pk_fma_f32 v[200:201], v[24:25], s[14:15], v[186:187] neg_lo:[1,0,0] neg_hi:[1,0,0]
	v_pk_fma_f32 v[172:173], v[24:25], s[14:15], v[186:187]
	v_pk_mul_f32 v[190:191], v[124:125], s[62:63]
	s_mov_b32 s78, s17
	s_mov_b32 s79, s66
	v_pk_add_f32 v[6:7], v[8:9], v[6:7]
	v_pk_add_f32 v[4:5], v[174:175], v[4:5]
	v_mov_b32_e32 v201, v173
	v_pk_fma_f32 v[202:203], v[30:31], s[30:31], v[190:191] neg_lo:[1,0,0] neg_hi:[1,0,0]
	v_pk_fma_f32 v[174:175], v[30:31], s[30:31], v[190:191]
	s_mov_b32 s67, s17
	v_pk_mul_f32 v[192:193], v[94:95], s[78:79]
	v_pk_add_f32 v[6:7], v[198:199], v[6:7]
	v_mov_b32_e32 v203, v175
	v_pk_fma_f32 v[204:205], v[36:37], s[66:67], v[192:193] neg_lo:[1,0,0] neg_hi:[1,0,0]
	v_pk_fma_f32 v[176:177], v[36:37], s[66:67], v[192:193]
	v_pk_mul_f32 v[194:195], v[90:91], s[52:53]
	v_pk_add_f32 v[6:7], v[200:201], v[6:7]
	v_mov_b32_e32 v205, v177
	v_pk_fma_f32 v[206:207], v[42:43], s[22:23], v[194:195] neg_lo:[1,0,0] neg_hi:[1,0,0]
	v_pk_fma_f32 v[182:183], v[42:43], s[22:23], v[194:195]
	;; [unrolled: 5-line block ×3, first 2 shown]
	v_pk_add_f32 v[6:7], v[204:205], v[6:7]
	v_mov_b32_e32 v209, v189
	v_pk_add_f32 v[6:7], v[206:207], v[6:7]
	v_pk_mul_f32 v[212:213], v[132:133], s[50:51]
	v_pk_add_f32 v[6:7], v[208:209], v[6:7]
	ds_write2_b64 v117, v[4:5], v[6:7] offset0:4 offset1:5
	v_pk_fma_f32 v[4:5], v[12:13], s[20:21], v[212:213] neg_lo:[1,0,0] neg_hi:[1,0,0]
	v_pk_fma_f32 v[198:199], v[12:13], s[20:21], v[212:213]
	v_pk_mul_f32 v[216:217], v[130:131], s[72:73]
	v_mov_b32_e32 v5, v199
	v_pk_fma_f32 v[6:7], v[10:11], s[36:37], v[216:217] neg_lo:[1,0,0] neg_hi:[1,0,0]
	v_pk_fma_f32 v[200:201], v[10:11], s[36:37], v[216:217]
	v_pk_mul_f32 v[218:219], v[128:129], s[52:53]
	v_mov_b32_e32 v7, v201
	v_pk_fma_f32 v[8:9], v[18:19], s[22:23], v[218:219] neg_lo:[1,0,0] neg_hi:[1,0,0]
	v_pk_fma_f32 v[202:203], v[18:19], s[22:23], v[218:219]
	v_pk_mul_f32 v[220:221], v[126:127], s[54:55]
	v_pk_add_f32 v[4:5], v[38:39], v[4:5]
	v_mov_b32_e32 v9, v203
	v_pk_fma_f32 v[230:231], v[24:25], s[28:29], v[220:221] neg_lo:[1,0,0] neg_hi:[1,0,0]
	v_pk_fma_f32 v[204:205], v[24:25], s[28:29], v[220:221]
	v_pk_mul_f32 v[222:223], v[124:125], s[78:79]
	v_pk_add_f32 v[4:5], v[6:7], v[4:5]
	;; [unrolled: 5-line block ×5, first 2 shown]
	v_mov_b32_e32 v237, v211
	v_pk_fma_f32 v[238:239], v[48:49], s[38:39], v[228:229] neg_lo:[1,0,0] neg_hi:[1,0,0]
	v_pk_fma_f32 v[214:215], v[48:49], s[38:39], v[228:229]
	v_pk_add_f32 v[4:5], v[234:235], v[4:5]
	v_mov_b32_e32 v239, v215
	v_pk_add_f32 v[4:5], v[236:237], v[4:5]
	v_pk_mul_f32 v[242:243], v[132:133], s[54:55]
	v_pk_add_f32 v[14:15], v[238:239], v[4:5]
	v_pk_fma_f32 v[4:5], v[12:13], s[28:29], v[242:243] neg_lo:[1,0,0] neg_hi:[1,0,0]
	v_pk_fma_f32 v[16:17], v[12:13], s[28:29], v[242:243]
	v_pk_mul_f32 v[246:247], v[130:131], s[56:57]
	v_mov_b32_e32 v5, v17
	v_pk_fma_f32 v[230:231], v[10:11], s[38:39], v[246:247] neg_lo:[1,0,0] neg_hi:[1,0,0]
	v_pk_fma_f32 v[8:9], v[10:11], s[38:39], v[246:247]
	v_pk_mul_f32 v[248:249], v[128:129], s[58:59]
	v_mov_b32_e32 v231, v9
	v_pk_fma_f32 v[232:233], v[18:19], s[16:17], v[248:249] neg_lo:[1,0,0] neg_hi:[1,0,0]
	v_pk_fma_f32 v[6:7], v[18:19], s[16:17], v[248:249]
	v_pk_mul_f32 v[250:251], v[126:127], s[76:77]
	v_pk_add_f32 v[4:5], v[38:39], v[4:5]
	v_mov_b32_e32 v233, v7
	v_pk_fma_f32 v[234:235], v[24:25], s[46:47], v[250:251] neg_lo:[1,0,0] neg_hi:[1,0,0]
	v_pk_fma_f32 v[64:65], v[24:25], s[46:47], v[250:251]
	v_pk_mul_f32 v[252:253], v[124:125], s[52:53]
	v_pk_add_f32 v[4:5], v[230:231], v[4:5]
	;; [unrolled: 5-line block ×5, first 2 shown]
	v_mov_b32_e32 v241, v73
	v_pk_fma_f32 v[244:245], v[48:49], s[18:19], v[22:23] neg_lo:[1,0,0] neg_hi:[1,0,0]
	v_pk_fma_f32 v[74:75], v[48:49], s[18:19], v[22:23]
	v_pk_add_f32 v[4:5], v[238:239], v[4:5]
	v_mov_b32_e32 v245, v75
	v_pk_add_f32 v[4:5], v[240:241], v[4:5]
	v_pk_mul_f32 v[20:21], v[132:133], s[62:63]
	v_pk_add_f32 v[4:5], v[244:245], v[4:5]
	ds_write2_b64 v117, v[14:15], v[4:5] offset0:6 offset1:7
	v_pk_fma_f32 v[14:15], v[12:13], s[30:31], v[20:21] neg_lo:[1,0,0] neg_hi:[1,0,0]
	v_pk_fma_f32 v[132:133], v[12:13], s[30:31], v[20:21]
	v_pk_mul_f32 v[130:131], v[130:131], s[60:61]
	v_mov_b32_e32 v15, v133
	v_pk_fma_f32 v[230:231], v[10:11], s[40:41], v[130:131] neg_lo:[1,0,0] neg_hi:[1,0,0]
	v_pk_fma_f32 v[232:233], v[10:11], s[40:41], v[130:131]
	v_pk_mul_f32 v[128:129], v[128:129], s[54:55]
	v_mov_b32_e32 v231, v233
	v_pk_fma_f32 v[234:235], v[18:19], s[28:29], v[128:129] neg_lo:[1,0,0] neg_hi:[1,0,0]
	v_pk_fma_f32 v[236:237], v[18:19], s[28:29], v[128:129]
	v_pk_mul_f32 v[126:127], v[126:127], s[68:69]
	v_pk_add_f32 v[14:15], v[38:39], v[14:15]
	v_mov_b32_e32 v235, v237
	v_pk_fma_f32 v[238:239], v[24:25], s[44:45], v[126:127] neg_lo:[1,0,0] neg_hi:[1,0,0]
	v_pk_fma_f32 v[240:241], v[24:25], s[44:45], v[126:127]
	v_pk_mul_f32 v[124:125], v[124:125], s[50:51]
	v_pk_add_f32 v[14:15], v[230:231], v[14:15]
	;; [unrolled: 5-line block ×3, first 2 shown]
	v_accvgpr_write_b32 a45, v1
	v_mov_b32_e32 v245, v79
	v_pk_fma_f32 v[82:83], v[36:37], s[38:39], v[94:95] neg_lo:[1,0,0] neg_hi:[1,0,0]
	v_pk_fma_f32 v[84:85], v[36:37], s[38:39], v[94:95]
	v_pk_mul_f32 v[90:91], v[90:91], s[48:49]
	v_pk_add_f32 v[14:15], v[238:239], v[14:15]
	v_accvgpr_write_b32 a21, v3
	v_accvgpr_write_b32 a44, v0
	v_mov_b32_e32 v83, v85
	v_pk_fma_f32 v[100:101], v[42:43], s[18:19], v[90:91] neg_lo:[1,0,0] neg_hi:[1,0,0]
	v_pk_fma_f32 v[0:1], v[42:43], s[18:19], v[90:91]
	v_pk_mul_f32 v[88:89], v[88:89], s[78:79]
	v_pk_add_f32 v[14:15], v[244:245], v[14:15]
	v_accvgpr_write_b32 a20, v2
	v_mov_b32_e32 v101, v1
	v_pk_fma_f32 v[4:5], v[48:49], s[66:67], v[88:89] neg_lo:[1,0,0] neg_hi:[1,0,0]
	v_pk_fma_f32 v[2:3], v[48:49], s[66:67], v[88:89]
	v_pk_add_f32 v[14:15], v[82:83], v[14:15]
	v_mov_b32_e32 v5, v3
	v_pk_add_f32 v[14:15], v[100:101], v[14:15]
	s_nop 0
	v_pk_add_f32 v[4:5], v[4:5], v[14:15]
	v_pk_fma_f32 v[14:15], v[12:13], s[30:31], v[20:21] neg_lo:[0,0,1] neg_hi:[0,0,1]
	s_nop 0
	v_mov_b32_e32 v133, v15
	v_pk_fma_f32 v[14:15], v[10:11], s[40:41], v[130:131] neg_lo:[0,0,1] neg_hi:[0,0,1]
	s_nop 0
	v_mov_b32_e32 v233, v15
	;; [unrolled: 3-line block ×8, first 2 shown]
	v_pk_add_f32 v[14:15], v[38:39], v[132:133]
	s_nop 0
	v_pk_add_f32 v[14:15], v[232:233], v[14:15]
	s_nop 0
	;; [unrolled: 2-line block ×7, first 2 shown]
	v_pk_add_f32 v[0:1], v[2:3], v[0:1]
	ds_write2_b64 v117, v[4:5], v[0:1] offset0:8 offset1:9
	v_pk_fma_f32 v[0:1], v[12:13], s[28:29], v[242:243] neg_lo:[0,0,1] neg_hi:[0,0,1]
	v_pk_fma_f32 v[2:3], v[12:13], s[20:21], v[212:213] neg_lo:[0,0,1] neg_hi:[0,0,1]
	v_mov_b32_e32 v17, v1
	v_pk_fma_f32 v[0:1], v[10:11], s[38:39], v[246:247] neg_lo:[0,0,1] neg_hi:[0,0,1]
	v_mov_b32_e32 v199, v3
	;; [unrolled: 2-line block ×15, first 2 shown]
	v_pk_add_f32 v[0:1], v[38:39], v[16:17]
	v_mov_b32_e32 v215, v3
	v_pk_add_f32 v[2:3], v[38:39], v[198:199]
	v_pk_add_f32 v[0:1], v[8:9], v[0:1]
	;; [unrolled: 1-line block ×15, first 2 shown]
	ds_write2_b64 v117, v[0:1], v[2:3] offset0:10 offset1:11
	v_pk_fma_f32 v[0:1], v[12:13], s[18:19], v[178:179] neg_lo:[0,0,1] neg_hi:[0,0,1]
	v_pk_fma_f32 v[2:3], v[12:13], s[16:17], v[146:147] neg_lo:[0,0,1] neg_hi:[0,0,1]
	v_mov_b32_e32 v167, v1
	v_pk_fma_f32 v[0:1], v[10:11], s[34:35], v[180:181] neg_lo:[0,0,1] neg_hi:[0,0,1]
	v_mov_b32_e32 v135, v3
	;; [unrolled: 2-line block ×15, first 2 shown]
	v_pk_add_f32 v[0:1], v[38:39], v[166:167]
	v_mov_b32_e32 v157, v3
	v_pk_add_f32 v[2:3], v[38:39], v[134:135]
	v_pk_add_f32 v[0:1], v[168:169], v[0:1]
	;; [unrolled: 1-line block ×15, first 2 shown]
	ds_write2_b64 v117, v[0:1], v[2:3] offset0:12 offset1:13
	v_accvgpr_read_b32 v2, a24
	v_accvgpr_read_b32 v3, a25
	v_pk_fma_f32 v[2:3], v[12:13], s[0:1], v[2:3] neg_lo:[0,0,1] neg_hi:[0,0,1]
	v_accvgpr_read_b32 v0, a40
	v_mov_b32_e32 v55, v3
	v_accvgpr_read_b32 v2, a26
	v_accvgpr_read_b32 v3, a27
	v_pk_fma_f32 v[2:3], v[10:11], s[16:17], v[2:3] neg_lo:[0,0,1] neg_hi:[0,0,1]
	v_accvgpr_read_b32 v1, a41
	v_mov_b32_e32 v57, v3
	v_accvgpr_read_b32 v2, a28
	v_accvgpr_read_b32 v3, a29
	v_pk_fma_f32 v[2:3], v[18:19], s[20:21], v[2:3] neg_lo:[0,0,1] neg_hi:[0,0,1]
	v_pk_fma_f32 v[0:1], v[12:13], s[14:15], v[0:1] neg_lo:[0,0,1] neg_hi:[0,0,1]
	v_mov_b32_e32 v59, v3
	v_accvgpr_read_b32 v2, a30
	v_accvgpr_read_b32 v3, a31
	v_pk_fma_f32 v[2:3], v[24:25], s[30:31], v[2:3] neg_lo:[0,0,1] neg_hi:[0,0,1]
	v_mov_b32_e32 v87, v1
	v_mov_b32_e32 v61, v3
	v_accvgpr_read_b32 v2, a32
	v_accvgpr_read_b32 v0, a42
	;; [unrolled: 1-line block ×4, first 2 shown]
	v_pk_fma_f32 v[2:3], v[30:31], s[34:35], v[2:3] neg_lo:[0,0,1] neg_hi:[0,0,1]
	v_pk_fma_f32 v[0:1], v[10:11], s[20:21], v[0:1] neg_lo:[0,0,1] neg_hi:[0,0,1]
	v_mov_b32_e32 v63, v3
	v_accvgpr_read_b32 v2, a34
	v_mov_b32_e32 v93, v1
	v_accvgpr_read_b32 v0, a44
	v_accvgpr_read_b32 v3, a35
	;; [unrolled: 1-line block ×3, first 2 shown]
	v_pk_fma_f32 v[2:3], v[36:37], s[36:37], v[2:3] neg_lo:[0,0,1] neg_hi:[0,0,1]
	v_pk_fma_f32 v[0:1], v[18:19], s[42:43], v[0:1] neg_lo:[0,0,1] neg_hi:[0,0,1]
	v_mov_b32_e32 v69, v3
	v_accvgpr_read_b32 v2, a36
	v_mov_b32_e32 v97, v1
	v_pk_fma_f32 v[0:1], v[24:25], s[36:37], v[46:47] neg_lo:[0,0,1] neg_hi:[0,0,1]
	v_accvgpr_read_b32 v3, a37
	v_mov_b32_e32 v99, v1
	v_pk_fma_f32 v[0:1], v[30:31], s[44:45], v[28:29] neg_lo:[0,0,1] neg_hi:[0,0,1]
	v_pk_fma_f32 v[2:3], v[42:43], s[38:39], v[2:3] neg_lo:[0,0,1] neg_hi:[0,0,1]
	v_mov_b32_e32 v103, v1
	v_pk_fma_f32 v[0:1], v[36:37], s[22:23], v[118:119] neg_lo:[0,0,1] neg_hi:[0,0,1]
	v_mov_b32_e32 v77, v3
	v_accvgpr_read_b32 v2, a38
	v_mov_b32_e32 v107, v1
	v_pk_fma_f32 v[0:1], v[42:43], s[16:17], v[120:121] neg_lo:[0,0,1] neg_hi:[0,0,1]
	v_accvgpr_read_b32 v3, a39
	v_mov_b32_e32 v109, v1
	v_pk_fma_f32 v[0:1], v[48:49], s[28:29], v[122:123] neg_lo:[0,0,1] neg_hi:[0,0,1]
	v_pk_fma_f32 v[2:3], v[48:49], s[40:41], v[2:3] neg_lo:[0,0,1] neg_hi:[0,0,1]
	v_mov_b32_e32 v115, v1
	v_pk_add_f32 v[0:1], v[38:39], v[86:87]
	v_mov_b32_e32 v81, v3
	v_pk_add_f32 v[2:3], v[38:39], v[54:55]
	v_pk_add_f32 v[0:1], v[92:93], v[0:1]
	v_pk_add_f32 v[2:3], v[56:57], v[2:3]
	v_pk_add_f32 v[0:1], v[96:97], v[0:1]
	v_pk_add_f32 v[2:3], v[58:59], v[2:3]
	v_pk_add_f32 v[0:1], v[98:99], v[0:1]
	v_pk_add_f32 v[2:3], v[60:61], v[2:3]
	v_pk_add_f32 v[0:1], v[102:103], v[0:1]
	v_pk_add_f32 v[2:3], v[62:63], v[2:3]
	v_pk_add_f32 v[0:1], v[106:107], v[0:1]
	v_pk_add_f32 v[2:3], v[68:69], v[2:3]
	v_pk_add_f32 v[0:1], v[108:109], v[0:1]
	v_pk_add_f32 v[2:3], v[76:77], v[2:3]
	v_pk_add_f32 v[0:1], v[114:115], v[0:1]
	v_pk_add_f32 v[2:3], v[80:81], v[2:3]
	ds_write2_b64 v117, v[0:1], v[2:3] offset0:14 offset1:15
	v_accvgpr_read_b32 v2, a10
	v_accvgpr_read_b32 v3, a11
	v_pk_fma_f32 v[2:3], v[10:11], s[0:1], v[2:3] neg_lo:[0,0,1] neg_hi:[0,0,1]
	v_accvgpr_read_b32 v0, a8
	v_mov_b32_e32 v105, v3
	v_accvgpr_read_b32 v2, a12
	v_accvgpr_read_b32 v3, a13
	v_pk_fma_f32 v[2:3], v[18:19], s[14:15], v[2:3] neg_lo:[0,0,1] neg_hi:[0,0,1]
	v_accvgpr_read_b32 v1, a9
	v_mov_b32_e32 v53, v3
	v_accvgpr_read_b32 v2, a14
	v_accvgpr_read_b32 v3, a15
	v_pk_fma_f32 v[2:3], v[24:25], s[16:17], v[2:3] neg_lo:[0,0,1] neg_hi:[0,0,1]
	v_pk_fma_f32 v[0:1], v[12:13], s[22:23], v[0:1] neg_lo:[0,0,1] neg_hi:[0,0,1]
	v_mov_b32_e32 v41, v3
	v_accvgpr_read_b32 v2, a16
	v_accvgpr_read_b32 v3, a17
	v_pk_fma_f32 v[2:3], v[30:31], s[18:19], v[2:3] neg_lo:[0,0,1] neg_hi:[0,0,1]
	v_mov_b32_e32 v113, v1
	v_mov_b32_e32 v35, v3
	v_accvgpr_read_b32 v2, a18
	v_accvgpr_read_b32 v3, a19
	v_pk_fma_f32 v[2:3], v[36:37], s[20:21], v[2:3] neg_lo:[0,0,1] neg_hi:[0,0,1]
	v_pk_add_f32 v[0:1], v[38:39], v[112:113]
	v_mov_b32_e32 v33, v3
	v_accvgpr_read_b32 v2, a20
	v_pk_add_f32 v[0:1], v[104:105], v[0:1]
	v_accvgpr_read_b32 v3, a21
	v_pk_add_f32 v[0:1], v[52:53], v[0:1]
	v_pk_fma_f32 v[2:3], v[42:43], s[28:29], v[2:3] neg_lo:[0,0,1] neg_hi:[0,0,1]
	v_pk_add_f32 v[0:1], v[40:41], v[0:1]
	v_mov_b32_e32 v45, v3
	v_accvgpr_read_b32 v2, a22
	v_pk_add_f32 v[0:1], v[34:35], v[0:1]
	v_accvgpr_read_b32 v3, a23
	v_pk_add_f32 v[0:1], v[32:33], v[0:1]
	v_pk_fma_f32 v[2:3], v[48:49], s[30:31], v[2:3] neg_lo:[0,0,1] neg_hi:[0,0,1]
	v_pk_add_f32 v[0:1], v[44:45], v[0:1]
	v_mov_b32_e32 v111, v3
	v_pk_add_f32 v[0:1], v[110:111], v[0:1]
	ds_write_b64 v117, v[0:1] offset:128
	v_accvgpr_read_b32 v0, a6
	v_lshlrev_b32_e32 v30, 7, v51
	s_waitcnt lgkmcnt(0)
	s_barrier
	ds_read_b64 v[44:45], v0
	ds_read2_b64 v[0:3], v116 offset0:17 offset1:34
	ds_read2_b32 v[12:13], v116 offset0:102 offset1:103
	global_load_dwordx4 v[4:7], v30, s[82:83] offset:48
	global_load_dwordx4 v[8:11], v30, s[82:83] offset:32
	;; [unrolled: 1-line block ×3, first 2 shown]
	global_load_dwordx4 v[18:21], v30, s[82:83]
	v_mov_b32_e32 v62, 3
	v_mov_b32_e32 v63, 0x1000
	s_waitcnt vmcnt(1) lgkmcnt(0)
	v_mul_f32_e32 v29, v15, v12
	s_waitcnt vmcnt(0)
	v_mul_f32_e32 v22, v19, v1
	v_fma_f32 v24, v18, v0, -v22
	v_mul_f32_e32 v25, v19, v0
	v_mul_f32_e32 v0, v21, v3
	v_fma_f32 v26, v20, v2, -v0
	v_mul_f32_e32 v27, v21, v2
	v_mul_f32_e32 v0, v13, v15
	v_fmac_f32_e32 v25, v18, v1
	v_fmac_f32_e32 v27, v20, v3
	v_fma_f32 v28, v14, v12, -v0
	ds_read2_b64 v[0:3], v116 offset0:68 offset1:85
	v_mov_b32_e32 v12, v17
	v_fmac_f32_e32 v29, v13, v14
	s_waitcnt lgkmcnt(0)
	v_pk_mul_f32 v[12:13], v[0:1], v[12:13] op_sel:[1,0] op_sel_hi:[0,1]
	v_pk_fma_f32 v[72:73], v[0:1], v[16:17], v[12:13] neg_lo:[0,0,1] neg_hi:[0,0,1]
	v_pk_mul_f32 v[12:13], v[0:1], v[16:17] op_sel:[1,0] op_sel_hi:[0,1]
	v_mov_b32_e32 v12, v13
	v_pk_fma_f32 v[70:71], v[0:1], v[16:17], v[12:13] op_sel:[1,0,0] op_sel_hi:[0,1,1]
	v_mov_b32_e32 v0, v9
	v_pk_mul_f32 v[0:1], v[2:3], v[0:1] op_sel:[1,0] op_sel_hi:[0,1]
	v_pk_fma_f32 v[68:69], v[2:3], v[8:9], v[0:1] neg_lo:[0,0,1] neg_hi:[0,0,1]
	v_pk_mul_f32 v[0:1], v[2:3], v[8:9] op_sel:[1,0] op_sel_hi:[0,1]
	v_mov_b32_e32 v0, v1
	v_pk_fma_f32 v[66:67], v[2:3], v[8:9], v[0:1] op_sel:[1,0,0] op_sel_hi:[0,1,1]
	ds_read2_b64 v[0:3], v116 offset0:102 offset1:119
	v_mov_b32_e32 v8, v11
	s_waitcnt lgkmcnt(0)
	v_pk_mul_f32 v[8:9], v[0:1], v[8:9] op_sel:[1,0] op_sel_hi:[0,1]
	v_pk_fma_f32 v[60:61], v[0:1], v[10:11], v[8:9] neg_lo:[0,0,1] neg_hi:[0,0,1]
	v_pk_mul_f32 v[8:9], v[0:1], v[10:11] op_sel:[1,0] op_sel_hi:[0,1]
	v_mov_b32_e32 v8, v9
	v_pk_fma_f32 v[58:59], v[0:1], v[10:11], v[8:9] op_sel:[1,0,0] op_sel_hi:[0,1,1]
	v_mov_b32_e32 v0, v5
	v_pk_mul_f32 v[0:1], v[2:3], v[0:1] op_sel:[1,0] op_sel_hi:[0,1]
	v_pk_fma_f32 v[42:43], v[2:3], v[4:5], v[0:1] neg_lo:[0,0,1] neg_hi:[0,0,1]
	v_pk_mul_f32 v[0:1], v[2:3], v[4:5] op_sel:[1,0] op_sel_hi:[0,1]
	v_mov_b32_e32 v0, v1
	v_pk_fma_f32 v[52:53], v[2:3], v[4:5], v[0:1] op_sel:[1,0,0] op_sel_hi:[0,1,1]
	ds_read2_b64 v[2:5], v116 offset0:136 offset1:153
	v_mov_b32_e32 v0, v7
	s_waitcnt lgkmcnt(0)
	v_pk_mul_f32 v[0:1], v[2:3], v[0:1] op_sel:[1,0] op_sel_hi:[0,1]
	v_pk_fma_f32 v[22:23], v[2:3], v[6:7], v[0:1] neg_lo:[0,0,1] neg_hi:[0,0,1]
	v_pk_mul_f32 v[0:1], v[2:3], v[6:7] op_sel:[1,0] op_sel_hi:[0,1]
	v_mov_b32_e32 v0, v1
	v_pk_fma_f32 v[46:47], v[2:3], v[6:7], v[0:1] op_sel:[1,0,0] op_sel_hi:[0,1,1]
	global_load_dwordx4 v[0:3], v30, s[82:83] offset:112
	global_load_dwordx4 v[32:35], v30, s[82:83] offset:96
	;; [unrolled: 1-line block ×4, first 2 shown]
	ds_read2_b64 v[36:39], v116 offset0:170 offset1:187
	s_waitcnt vmcnt(1)
	v_mov_b32_e32 v12, v19
	s_waitcnt vmcnt(0)
	v_mov_b32_e32 v10, v7
	v_pk_mul_f32 v[10:11], v[4:5], v[10:11] op_sel:[1,0] op_sel_hi:[0,1]
	v_pk_fma_f32 v[92:93], v[4:5], v[6:7], v[10:11] neg_lo:[0,0,1] neg_hi:[0,0,1]
	v_pk_mul_f32 v[10:11], v[4:5], v[6:7] op_sel:[1,0] op_sel_hi:[0,1]
	v_mov_b32_e32 v10, v11
	v_pk_fma_f32 v[4:5], v[4:5], v[6:7], v[10:11] op_sel:[1,0,0] op_sel_hi:[0,1,1]
	v_mov_b32_e32 v6, v9
	s_waitcnt lgkmcnt(0)
	v_pk_mul_f32 v[6:7], v[36:37], v[6:7] op_sel:[1,0] op_sel_hi:[0,1]
	v_pk_fma_f32 v[96:97], v[36:37], v[8:9], v[6:7] neg_lo:[0,0,1] neg_hi:[0,0,1]
	v_pk_mul_f32 v[6:7], v[36:37], v[8:9] op_sel:[1,0] op_sel_hi:[0,1]
	v_mov_b32_e32 v6, v7
	v_pk_fma_f32 v[6:7], v[36:37], v[8:9], v[6:7] op_sel:[1,0,0] op_sel_hi:[0,1,1]
	v_mov_b32_e32 v8, v17
	v_pk_mul_f32 v[8:9], v[38:39], v[8:9] op_sel:[1,0] op_sel_hi:[0,1]
	v_pk_fma_f32 v[10:11], v[38:39], v[16:17], v[8:9] neg_lo:[0,0,1] neg_hi:[0,0,1]
	v_pk_mul_f32 v[8:9], v[38:39], v[16:17] op_sel:[1,0] op_sel_hi:[0,1]
	v_mov_b32_e32 v8, v9
	v_pk_fma_f32 v[8:9], v[38:39], v[16:17], v[8:9] op_sel:[1,0,0] op_sel_hi:[0,1,1]
	ds_read2_b64 v[36:39], v116 offset0:204 offset1:221
	v_pk_add_f32 v[174:175], v[60:61], v[10:11]
	v_pk_add_f32 v[176:177], v[58:59], v[8:9] neg_lo:[0,1] neg_hi:[0,1]
	v_pk_add_f32 v[178:179], v[42:43], v[96:97]
	v_pk_add_f32 v[180:181], v[52:53], v[6:7] neg_lo:[0,1] neg_hi:[0,1]
	s_waitcnt lgkmcnt(0)
	v_pk_mul_f32 v[12:13], v[36:37], v[12:13] op_sel:[1,0] op_sel_hi:[0,1]
	v_pk_fma_f32 v[16:17], v[36:37], v[18:19], v[12:13] neg_lo:[0,0,1] neg_hi:[0,0,1]
	v_pk_mul_f32 v[12:13], v[36:37], v[18:19] op_sel:[1,0] op_sel_hi:[0,1]
	v_mov_b32_e32 v12, v13
	v_pk_fma_f32 v[14:15], v[36:37], v[18:19], v[12:13] op_sel:[1,0,0] op_sel_hi:[0,1,1]
	v_mov_b32_e32 v12, v33
	v_pk_mul_f32 v[12:13], v[38:39], v[12:13] op_sel:[1,0] op_sel_hi:[0,1]
	v_pk_fma_f32 v[20:21], v[38:39], v[32:33], v[12:13] neg_lo:[0,0,1] neg_hi:[0,0,1]
	v_pk_mul_f32 v[12:13], v[38:39], v[32:33] op_sel:[1,0] op_sel_hi:[0,1]
	v_mov_b32_e32 v12, v13
	v_pk_fma_f32 v[18:19], v[38:39], v[32:33], v[12:13] op_sel:[1,0,0] op_sel_hi:[0,1,1]
	ds_read2_b64 v[36:39], v116 offset0:238 offset1:255
	v_pk_add_f32 v[166:167], v[72:73], v[20:21]
	v_pk_add_f32 v[168:169], v[70:71], v[18:19] neg_lo:[0,1] neg_hi:[0,1]
	v_pk_add_f32 v[170:171], v[68:69], v[16:17]
	v_pk_add_f32 v[172:173], v[66:67], v[14:15] neg_lo:[0,1] neg_hi:[0,1]
	s_waitcnt lgkmcnt(0)
	v_pk_mul_f32 v[32:33], v[38:39], v[0:1]
	v_mul_f32_e32 v0, v39, v0
	v_sub_f32_e32 v48, v32, v33
	ds_read_b64 v[32:33], v116 offset:2176
	v_fmac_f32_e32 v0, v38, v1
	v_pk_mul_f32 v[12:13], v[36:37], v[34:35]
	v_add_f32_e32 v104, v26, v48
	v_sub_f32_e32 v12, v12, v13
	s_waitcnt lgkmcnt(0)
	v_mul_f32_e32 v1, v32, v2
	v_fma_f32 v49, -v33, v3, v1
	v_pk_mul_f32 v[2:3], v[32:33], v[2:3] op_sel:[1,0] op_sel_hi:[0,1]
	v_add_f32_e32 v3, v2, v3
	v_sub_f32_e32 v55, v25, v3
	v_mul_f32_e32 v13, v37, v34
	v_add_f32_e32 v1, v24, v49
	v_sub_f32_e32 v54, v24, v49
	v_mul_f32_e32 v102, 0xbeb8f4ab, v55
	v_mul_f32_e32 v100, 0xbf2c7751, v55
	;; [unrolled: 1-line block ×8, first 2 shown]
	v_fmac_f32_e32 v13, v36, v35
	v_add_f32_e32 v2, v25, v3
	v_fma_f32 v130, v1, s23, -v102
	v_mul_f32_e32 v131, 0xbeb8f4ab, v54
	v_fmac_f32_e32 v102, 0x3f6eb680, v1
	v_fma_f32 v40, v1, s1, -v100
	v_mul_f32_e32 v41, 0xbf2c7751, v54
	v_fmac_f32_e32 v100, 0x3f3d2fb0, v1
	;; [unrolled: 3-line block ×8, first 2 shown]
	v_mul_lo_u32 v1, v50, v51
	v_fma_f32 v103, v2, s23, -v131
	v_fmac_f32_e32 v131, 0x3f6eb680, v2
	v_fma_f32 v101, v2, s1, -v41
	v_fmac_f32_e32 v41, 0x3f3d2fb0, v2
	;; [unrolled: 2-line block ×7, first 2 shown]
	v_fmamk_f32 v57, v2, 0xbf7ba420, v54
	v_fma_f32 v85, v2, s31, -v54
	v_lshlrev_b32_sdwa v2, v62, v1 dst_sel:DWORD dst_unused:UNUSED_PAD src0_sel:DWORD src1_sel:BYTE_0
	global_load_dwordx2 v[64:65], v2, s[12:13]
	v_lshlrev_b32_sdwa v2, v62, v1 dst_sel:DWORD dst_unused:UNUSED_PAD src0_sel:DWORD src1_sel:BYTE_1
	global_load_dwordx2 v[74:75], v2, s[12:13] offset:2048
	v_bfe_u32 v1, v1, 16, 8
	v_lshl_or_b32 v1, v1, 3, v63
	v_add_f32_e32 v24, v24, v44
	v_add_f32_e32 v25, v25, v45
	;; [unrolled: 1-line block ×22, first 2 shown]
	v_accvgpr_write_b32 a6, v56
	v_sub_f32_e32 v105, v26, v48
	v_add_f32_e32 v24, v24, v16
	v_add_f32_e32 v25, v25, v14
	v_accvgpr_write_b32 a7, v57
	v_add_f32_e32 v57, v27, v0
	v_sub_f32_e32 v56, v27, v0
	v_add_f32_e32 v108, v28, v12
	v_add_f32_e32 v55, v29, v13
	v_sub_f32_e32 v109, v28, v12
	v_sub_f32_e32 v54, v29, v13
	v_add_f32_e32 v24, v24, v20
	v_add_f32_e32 v25, v25, v18
	v_pk_mul_f32 v[28:29], v[104:105], s[64:65]
	v_pk_add_f32 v[10:11], v[60:61], v[10:11] neg_lo:[0,1] neg_hi:[0,1]
	v_add_f32_e32 v12, v24, v12
	v_add_f32_e32 v13, v25, v13
	v_pk_add_f32 v[24:25], v[130:131], v[44:45]
	v_pk_fma_f32 v[26:27], v[56:57], s[0:1], v[28:29] neg_lo:[1,0,0] neg_hi:[1,0,0]
	v_pk_fma_f32 v[130:131], v[56:57], s[0:1], v[28:29]
	v_accvgpr_write_b32 a28, v28
	v_pk_add_f32 v[20:21], v[72:73], v[20:21] neg_lo:[0,1] neg_hi:[0,1]
	v_mov_b32_e32 v175, v10
	v_accvgpr_write_b32 a29, v29
	v_mov_b32_e32 v27, v131
	v_pk_mul_f32 v[28:29], v[108:109], s[70:71]
	v_mov_b32_e32 v167, v20
	v_pk_add_f32 v[18:19], v[70:71], v[18:19]
	v_pk_add_f32 v[16:17], v[68:69], v[16:17] neg_lo:[0,1] neg_hi:[0,1]
	v_pk_add_f32 v[8:9], v[58:59], v[8:9]
	v_pk_mul_f32 v[10:11], v[174:175], s[50:51]
	v_pk_add_f32 v[24:25], v[26:27], v[24:25]
	v_pk_fma_f32 v[26:27], v[54:55], s[14:15], v[28:29] neg_lo:[1,0,0] neg_hi:[1,0,0]
	v_pk_fma_f32 v[138:139], v[54:55], s[14:15], v[28:29]
	v_mov_b32_e32 v70, v168
	v_mov_b32_e32 v71, v18
	v_pk_mul_f32 v[20:21], v[166:167], s[58:59]
	v_mov_b32_e32 v171, v16
	v_pk_add_f32 v[14:15], v[66:67], v[14:15]
	v_mov_b32_e32 v58, v176
	v_mov_b32_e32 v59, v8
	v_accvgpr_write_b32 a37, v11
	v_mov_b32_e32 v27, v139
	v_pk_fma_f32 v[18:19], v[168:169], s[16:17], v[20:21] neg_lo:[1,0,0] neg_hi:[1,0,0]
	v_pk_fma_f32 v[82:83], v[70:71], s[16:17], v[20:21]
	v_mov_b32_e32 v66, v172
	v_mov_b32_e32 v67, v14
	v_pk_mul_f32 v[16:17], v[170:171], s[48:49]
	v_pk_fma_f32 v[8:9], v[176:177], s[20:21], v[10:11] neg_lo:[1,0,0] neg_hi:[1,0,0]
	v_pk_fma_f32 v[78:79], v[58:59], s[20:21], v[10:11]
	v_accvgpr_write_b32 a36, v10
	v_pk_add_f32 v[10:11], v[42:43], v[96:97] neg_lo:[0,1] neg_hi:[0,1]
	v_pk_add_f32 v[24:25], v[26:27], v[24:25]
	v_mov_b32_e32 v19, v83
	v_pk_fma_f32 v[14:15], v[172:173], s[18:19], v[16:17] neg_lo:[1,0,0] neg_hi:[1,0,0]
	s_waitcnt vmcnt(0)
	v_mul_f32_e32 v2, v65, v75
	v_mul_f32_e32 v75, v64, v75
	v_fma_f32 v76, v64, v74, -v2
	v_fmac_f32_e32 v75, v65, v74
	global_load_dwordx2 v[64:65], v1, s[12:13]
	v_pk_fma_f32 v[80:81], v[66:67], s[18:19], v[16:17]
	v_mov_b32_e32 v179, v10
	v_pk_add_f32 v[6:7], v[52:53], v[6:7]
	v_pk_add_f32 v[18:19], v[18:19], v[24:25]
	v_mov_b32_e32 v15, v81
	v_mov_b32_e32 v52, v180
	;; [unrolled: 1-line block ×3, first 2 shown]
	v_pk_mul_f32 v[10:11], v[178:179], s[54:55]
	v_pk_add_f32 v[14:15], v[14:15], v[18:19]
	v_mov_b32_e32 v9, v79
	v_pk_fma_f32 v[6:7], v[180:181], s[28:29], v[10:11] neg_lo:[1,0,0] neg_hi:[1,0,0]
	v_pk_add_f32 v[8:9], v[8:9], v[14:15]
	v_pk_add_f32 v[182:183], v[22:23], v[92:93]
	v_pk_add_f32 v[184:185], v[46:47], v[4:5] neg_lo:[0,1] neg_hi:[0,1]
	v_pk_add_f32 v[4:5], v[46:47], v[4:5]
	v_mov_b32_e32 v46, v184
	v_mov_b32_e32 v47, v4
	v_add_f32_e32 v12, v12, v48
	v_add_f32_e32 v0, v13, v0
	;; [unrolled: 1-line block ×4, first 2 shown]
	v_pk_mul_f32 v[186:187], v[104:105], s[50:51]
	v_pk_mul_f32 v[188:189], v[108:109], s[80:81]
	;; [unrolled: 1-line block ×4, first 2 shown]
	v_pk_fma_f32 v[48:49], v[70:71], s[36:37], v[190:191]
	v_pk_fma_f32 v[192:193], v[66:67], s[44:45], v[194:195]
	v_pk_mul_f32 v[198:199], v[174:175], s[52:53]
	v_pk_mul_f32 v[202:203], v[178:179], s[58:59]
	v_pk_fma_f32 v[196:197], v[58:59], s[22:23], v[198:199]
	v_pk_fma_f32 v[200:201], v[52:53], s[16:17], v[202:203]
	v_pk_mul_f32 v[208:209], v[104:105], s[62:63]
	v_pk_mul_f32 v[210:211], v[108:109], s[72:73]
	v_pk_mul_f32 v[212:213], v[166:167], s[60:61]
	v_pk_mul_f32 v[216:217], v[170:171], s[70:71]
	v_pk_mul_f32 v[220:221], v[174:175], s[54:55]
	v_pk_fma_f32 v[214:215], v[66:67], s[14:15], v[216:217]
	v_pk_fma_f32 v[218:219], v[58:59], s[28:29], v[220:221]
	v_pk_mul_f32 v[224:225], v[178:179], s[76:77]
	v_pk_mul_f32 v[230:231], v[104:105], s[74:75]
	v_pk_fma_f32 v[222:223], v[52:53], s[46:47], v[224:225]
	v_pk_mul_f32 v[232:233], v[108:109], s[68:69]
	v_pk_mul_f32 v[234:235], v[166:167], s[70:71]
	;; [unrolled: 1-line block ×4, first 2 shown]
	v_pk_fma_f32 v[236:237], v[66:67], s[30:31], v[238:239]
	v_pk_fma_f32 v[240:241], v[58:59], s[66:67], v[242:243]
	v_pk_mul_f32 v[246:247], v[178:179], s[52:53]
	v_pk_mul_f32 v[252:253], v[104:105], s[72:73]
	v_pk_fma_f32 v[244:245], v[52:53], s[22:23], v[246:247]
	v_pk_mul_f32 v[254:255], v[108:109], s[52:53]
	v_pk_mul_f32 v[72:73], v[166:167], s[54:55]
	;; [unrolled: 1-line block ×3, first 2 shown]
	v_accvgpr_write_b32 a33, v21
	v_accvgpr_write_b32 a32, v20
	;; [unrolled: 1-line block ×4, first 2 shown]
	v_pk_mul_f32 v[42:43], v[104:105], s[56:57]
	v_accvgpr_write_b32 a31, v29
	v_accvgpr_write_b32 a30, v28
	v_pk_mul_f32 v[28:29], v[170:171], s[52:53]
	v_accvgpr_write_b32 a39, v11
	v_pk_mul_f32 v[26:27], v[174:175], s[62:63]
	;; [unrolled: 2-line block ×3, first 2 shown]
	s_waitcnt vmcnt(0)
	v_mul_f32_e32 v1, v75, v65
	v_fma_f32 v2, v64, v76, -v1
	v_mul_f32_e32 v1, v76, v65
	v_fmac_f32_e32 v1, v64, v75
	v_add_u32_e32 v64, 17, v51
	v_mul_lo_u32 v76, v50, v64
	v_lshlrev_b32_sdwa v64, v62, v76 dst_sel:DWORD dst_unused:UNUSED_PAD src0_sel:DWORD src1_sel:BYTE_0
	v_lshlrev_b32_sdwa v74, v62, v76 dst_sel:DWORD dst_unused:UNUSED_PAD src0_sel:DWORD src1_sel:BYTE_1
	global_load_dwordx2 v[64:65], v64, s[12:13]
	s_nop 0
	global_load_dwordx2 v[74:75], v74, s[12:13] offset:2048
	v_mul_f32_e32 v0, v3, v1
	v_mul_f32_e32 v1, v12, v1
	v_fma_f32 v0, v12, v2, -v0
	v_fmac_f32_e32 v1, v3, v2
	v_pk_fma_f32 v[12:13], v[66:67], s[22:23], v[28:29]
	v_pk_fma_f32 v[18:19], v[180:181], s[44:45], v[24:25] neg_lo:[1,0,0] neg_hi:[1,0,0]
	s_waitcnt vmcnt(0)
	v_mul_f32_e32 v77, v64, v74
	v_fma_f32 v77, -v65, v75, v77
	v_pk_mul_f32 v[64:65], v[64:65], v[74:75] op_sel:[1,0] op_sel_hi:[0,1]
	v_add_f32_e32 v74, v64, v65
	v_bfe_u32 v64, v76, 16, 8
	v_lshl_or_b32 v64, v64, 3, v63
	global_load_dwordx2 v[64:65], v64, s[12:13]
	s_waitcnt vmcnt(0)
	v_mul_f32_e32 v75, v74, v65
	v_mul_f32_e32 v152, v77, v65
	v_fma_f32 v150, v64, v77, -v75
	v_fmac_f32_e32 v152, v64, v74
	v_add_u32_e32 v64, 34, v51
	v_mul_lo_u32 v76, v50, v64
	v_lshlrev_b32_sdwa v64, v62, v76 dst_sel:DWORD dst_unused:UNUSED_PAD src0_sel:DWORD src1_sel:BYTE_0
	v_lshlrev_b32_sdwa v74, v62, v76 dst_sel:DWORD dst_unused:UNUSED_PAD src0_sel:DWORD src1_sel:BYTE_1
	global_load_dwordx2 v[64:65], v64, s[12:13]
	s_nop 0
	global_load_dwordx2 v[74:75], v74, s[12:13] offset:2048
	s_waitcnt vmcnt(0)
	v_mul_f32_e32 v77, v64, v74
	v_fma_f32 v77, -v65, v75, v77
	v_pk_mul_f32 v[64:65], v[64:65], v[74:75] op_sel:[1,0] op_sel_hi:[0,1]
	v_add_f32_e32 v74, v64, v65
	v_bfe_u32 v64, v76, 16, 8
	v_lshl_or_b32 v64, v64, 3, v63
	global_load_dwordx2 v[64:65], v64, s[12:13]
	s_waitcnt vmcnt(0)
	v_mul_f32_e32 v75, v74, v65
	v_mul_f32_e32 v148, v77, v65
	v_fma_f32 v146, v64, v77, -v75
	v_fmac_f32_e32 v148, v64, v74
	v_add_u32_e32 v64, 51, v51
	v_mul_lo_u32 v76, v50, v64
	v_lshlrev_b32_sdwa v64, v62, v76 dst_sel:DWORD dst_unused:UNUSED_PAD src0_sel:DWORD src1_sel:BYTE_0
	v_lshlrev_b32_sdwa v74, v62, v76 dst_sel:DWORD dst_unused:UNUSED_PAD src0_sel:DWORD src1_sel:BYTE_1
	global_load_dwordx2 v[64:65], v64, s[12:13]
	s_nop 0
	global_load_dwordx2 v[74:75], v74, s[12:13] offset:2048
	;; [unrolled: 20-line block ×6, first 2 shown]
	s_waitcnt vmcnt(0)
	v_mul_f32_e32 v77, v64, v74
	v_fma_f32 v77, -v65, v75, v77
	v_pk_mul_f32 v[64:65], v[64:65], v[74:75] op_sel:[1,0] op_sel_hi:[0,1]
	v_add_f32_e32 v74, v64, v65
	v_bfe_u32 v64, v76, 16, 8
	v_lshl_or_b32 v64, v64, 3, v63
	global_load_dwordx2 v[64:65], v64, s[12:13]
	s_waitcnt vmcnt(0)
	v_mul_f32_e32 v75, v74, v65
	v_mul_f32_e32 v120, v77, v65
	v_fma_f32 v76, v64, v77, -v75
	v_fmac_f32_e32 v120, v64, v74
	v_add_u32_e32 v64, 0x88, v51
	v_accvgpr_write_b32 a26, v76
	v_mul_lo_u32 v76, v50, v64
	v_lshlrev_b32_sdwa v64, v62, v76 dst_sel:DWORD dst_unused:UNUSED_PAD src0_sel:DWORD src1_sel:BYTE_0
	v_lshlrev_b32_sdwa v74, v62, v76 dst_sel:DWORD dst_unused:UNUSED_PAD src0_sel:DWORD src1_sel:BYTE_1
	global_load_dwordx2 v[64:65], v64, s[12:13]
	s_nop 0
	global_load_dwordx2 v[74:75], v74, s[12:13] offset:2048
	s_waitcnt vmcnt(0)
	v_mul_f32_e32 v77, v64, v74
	v_fma_f32 v77, -v65, v75, v77
	v_pk_mul_f32 v[64:65], v[64:65], v[74:75] op_sel:[1,0] op_sel_hi:[0,1]
	v_add_f32_e32 v74, v64, v65
	v_bfe_u32 v64, v76, 16, 8
	v_lshl_or_b32 v64, v64, 3, v63
	global_load_dwordx2 v[64:65], v64, s[12:13]
	s_waitcnt vmcnt(0)
	v_mul_f32_e32 v75, v74, v65
	v_mul_f32_e32 v112, v77, v65
	v_fma_f32 v76, v64, v77, -v75
	v_fmac_f32_e32 v112, v64, v74
	v_add_u32_e32 v64, 0x99, v51
	v_accvgpr_write_b32 a24, v76
	v_mul_lo_u32 v76, v50, v64
	v_lshlrev_b32_sdwa v64, v62, v76 dst_sel:DWORD dst_unused:UNUSED_PAD src0_sel:DWORD src1_sel:BYTE_0
	v_lshlrev_b32_sdwa v74, v62, v76 dst_sel:DWORD dst_unused:UNUSED_PAD src0_sel:DWORD src1_sel:BYTE_1
	global_load_dwordx2 v[64:65], v64, s[12:13]
	s_nop 0
	global_load_dwordx2 v[74:75], v74, s[12:13] offset:2048
	;; [unrolled: 21-line block ×8, first 2 shown]
	v_add_u32_e32 v51, 0x110, v51
	s_waitcnt vmcnt(0)
	v_mul_f32_e32 v77, v64, v74
	v_fma_f32 v77, -v65, v75, v77
	v_pk_mul_f32 v[64:65], v[64:65], v[74:75] op_sel:[1,0] op_sel_hi:[0,1]
	v_add_f32_e32 v74, v64, v65
	v_bfe_u32 v64, v76, 16, 8
	v_lshl_or_b32 v64, v64, 3, v63
	global_load_dwordx2 v[64:65], v64, s[12:13]
	s_waitcnt vmcnt(0)
	v_mul_f32_e32 v156, v77, v65
	v_mul_f32_e32 v75, v74, v65
	v_fmac_f32_e32 v156, v64, v74
	v_mul_lo_u32 v74, v50, v51
	v_lshlrev_b32_sdwa v50, v62, v74 dst_sel:DWORD dst_unused:UNUSED_PAD src0_sel:DWORD src1_sel:BYTE_0
	v_fma_f32 v76, v64, v77, -v75
	v_lshlrev_b32_sdwa v62, v62, v74 dst_sel:DWORD dst_unused:UNUSED_PAD src0_sel:DWORD src1_sel:BYTE_1
	global_load_dwordx2 v[50:51], v50, s[12:13]
	s_nop 0
	global_load_dwordx2 v[64:65], v62, s[12:13] offset:2048
	v_accvgpr_write_b32 a10, v76
	v_pk_fma_f32 v[76:77], v[52:53], s[28:29], v[10:11]
	v_pk_fma_f32 v[10:11], v[58:59], s[30:31], v[26:27]
	v_mov_b32_e32 v7, v77
	v_pk_add_f32 v[6:7], v[6:7], v[8:9]
	v_pk_add_f32 v[8:9], v[22:23], v[92:93] neg_lo:[0,1] neg_hi:[0,1]
	v_pk_fma_f32 v[22:23], v[66:67], s[66:67], v[68:69]
	v_mov_b32_e32 v183, v8
	v_pk_mul_f32 v[8:9], v[182:183], s[62:63]
	v_pk_mul_f32 v[164:165], v[182:183], s[60:61]
	v_pk_fma_f32 v[4:5], v[184:185], s[30:31], v[8:9] neg_lo:[1,0,0] neg_hi:[1,0,0]
	v_pk_fma_f32 v[162:163], v[46:47], s[40:41], v[164:165]
	v_pk_mul_f32 v[206:207], v[182:183], s[54:55]
	v_pk_mul_f32 v[228:229], v[182:183], s[68:69]
	v_pk_fma_f32 v[204:205], v[46:47], s[28:29], v[206:207]
	v_pk_fma_f32 v[226:227], v[46:47], s[44:45], v[228:229]
	v_pk_mul_f32 v[250:251], v[182:183], s[50:51]
	v_pk_mul_f32 v[60:61], v[182:183], s[56:57]
	v_pk_fma_f32 v[248:249], v[46:47], s[20:21], v[250:251]
	v_pk_fma_f32 v[14:15], v[46:47], s[38:39], v[60:61]
	v_accvgpr_write_b32 a41, v9
	v_accvgpr_write_b32 a40, v8
	s_waitcnt vmcnt(0)
	v_mul_f32_e32 v62, v50, v64
	v_fma_f32 v62, -v51, v65, v62
	v_pk_mul_f32 v[50:51], v[50:51], v[64:65] op_sel:[1,0] op_sel_hi:[0,1]
	v_add_f32_e32 v64, v50, v51
	v_bfe_u32 v50, v74, 16, 8
	v_lshl_or_b32 v50, v50, 3, v63
	global_load_dwordx2 v[50:51], v50, s[12:13]
	s_barrier
	s_waitcnt vmcnt(0)
	v_mul_f32_e32 v63, v64, v51
	v_fma_f32 v74, v50, v62, -v63
	v_accvgpr_write_b32 a8, v74
	v_pk_fma_f32 v[74:75], v[46:47], s[30:31], v[8:9]
	v_mul_f32_e32 v160, v62, v51
	v_mov_b32_e32 v5, v75
	v_pk_add_f32 v[4:5], v[4:5], v[6:7]
	v_fmac_f32_e32 v160, v50, v64
	v_pk_mul_f32 v[6:7], v[4:5], v[152:153] op_sel_hi:[1,0]
	v_pk_mul_f32 v[64:65], v[174:175], s[64:65]
	v_pk_fma_f32 v[2:3], v[4:5], v[150:151], v[6:7] op_sel:[0,0,1] op_sel_hi:[1,1,0] neg_lo:[0,0,1] neg_hi:[0,0,1]
	v_pk_fma_f32 v[4:5], v[4:5], v[150:151], v[6:7] op_sel:[0,0,1] op_sel_hi:[1,0,0]
	v_pk_add_f32 v[6:7], v[30:31], v[44:45]
	v_mov_b32_e32 v3, v5
	ds_write2_b64 v116, v[0:1], v[2:3] offset1:17
	v_pk_mul_f32 v[2:3], v[104:105], s[58:59]
	v_pk_mul_f32 v[4:5], v[108:109], s[50:51]
	v_pk_fma_f32 v[0:1], v[56:57], s[16:17], v[2:3] neg_lo:[1,0,0] neg_hi:[1,0,0]
	v_pk_fma_f32 v[92:93], v[56:57], s[16:17], v[2:3]
	v_accvgpr_write_b32 a43, v3
	v_accvgpr_write_b32 a45, v5
	;; [unrolled: 1-line block ×3, first 2 shown]
	v_mov_b32_e32 v1, v93
	v_pk_fma_f32 v[2:3], v[54:55], s[20:21], v[4:5] neg_lo:[1,0,0] neg_hi:[1,0,0]
	v_pk_fma_f32 v[96:97], v[54:55], s[20:21], v[4:5]
	v_accvgpr_write_b32 a44, v4
	v_pk_add_f32 v[4:5], v[40:41], v[44:45]
	v_mov_b32_e32 v3, v97
	v_pk_add_f32 v[0:1], v[0:1], v[4:5]
	v_pk_mul_f32 v[4:5], v[166:167], s[62:63]
	v_pk_add_f32 v[0:1], v[2:3], v[0:1]
	v_pk_fma_f32 v[2:3], v[168:169], s[30:31], v[4:5] neg_lo:[1,0,0] neg_hi:[1,0,0]
	v_pk_fma_f32 v[50:51], v[70:71], s[30:31], v[4:5]
	v_accvgpr_write_b32 a47, v5
	v_accvgpr_write_b32 a46, v4
	v_mov_b32_e32 v3, v51
	v_pk_mul_f32 v[4:5], v[170:171], s[74:75]
	v_pk_add_f32 v[0:1], v[2:3], v[0:1]
	v_pk_fma_f32 v[2:3], v[172:173], s[34:35], v[4:5] neg_lo:[1,0,0] neg_hi:[1,0,0]
	v_pk_fma_f32 v[150:151], v[66:67], s[34:35], v[4:5]
	v_accvgpr_write_b32 a49, v5
	v_accvgpr_write_b32 a48, v4
	v_mov_b32_e32 v3, v151
	;; [unrolled: 7-line block ×3, first 2 shown]
	v_pk_mul_f32 v[4:5], v[178:179], s[56:57]
	v_pk_add_f32 v[0:1], v[2:3], v[0:1]
	v_pk_fma_f32 v[2:3], v[180:181], s[38:39], v[4:5] neg_lo:[1,0,0] neg_hi:[1,0,0]
	v_pk_fma_f32 v[158:159], v[52:53], s[38:39], v[4:5]
	v_accvgpr_write_b32 a53, v5
	v_mov_b32_e32 v3, v159
	v_pk_add_f32 v[0:1], v[2:3], v[0:1]
	v_pk_fma_f32 v[2:3], v[184:185], s[40:41], v[164:165] neg_lo:[1,0,0] neg_hi:[1,0,0]
	v_accvgpr_write_b32 a52, v4
	v_mov_b32_e32 v3, v163
	v_pk_add_f32 v[0:1], v[2:3], v[0:1]
	v_pk_fma_f32 v[20:21], v[58:59], s[0:1], v[64:65]
	v_pk_mul_f32 v[2:3], v[0:1], v[148:149] op_sel_hi:[1,0]
	v_pk_fma_f32 v[148:149], v[54:55], s[42:43], v[188:189]
	v_pk_fma_f32 v[4:5], v[0:1], v[146:147], v[2:3] op_sel:[0,0,1] op_sel_hi:[1,1,0] neg_lo:[0,0,1] neg_hi:[0,0,1]
	v_pk_fma_f32 v[0:1], v[0:1], v[146:147], v[2:3] op_sel:[0,0,1] op_sel_hi:[1,0,0]
	v_pk_fma_f32 v[146:147], v[56:57], s[20:21], v[186:187]
	v_mov_b32_e32 v5, v1
	v_pk_fma_f32 v[0:1], v[56:57], s[20:21], v[186:187] neg_lo:[1,0,0] neg_hi:[1,0,0]
	v_pk_fma_f32 v[2:3], v[54:55], s[42:43], v[188:189] neg_lo:[1,0,0] neg_hi:[1,0,0]
	v_mov_b32_e32 v1, v147
	v_mov_b32_e32 v3, v149
	v_pk_add_f32 v[0:1], v[0:1], v[6:7]
	v_pk_mul_f32 v[62:63], v[178:179], s[62:63]
	v_pk_add_f32 v[0:1], v[2:3], v[0:1]
	v_pk_fma_f32 v[2:3], v[168:169], s[36:37], v[190:191] neg_lo:[1,0,0] neg_hi:[1,0,0]
	v_pk_fma_f32 v[16:17], v[52:53], s[30:31], v[62:63]
	v_mov_b32_e32 v3, v49
	v_pk_add_f32 v[0:1], v[2:3], v[0:1]
	v_pk_fma_f32 v[2:3], v[172:173], s[44:45], v[194:195] neg_lo:[1,0,0] neg_hi:[1,0,0]
	v_pk_mul_f32 v[40:41], v[108:109], s[58:59]
	v_mov_b32_e32 v3, v193
	v_pk_add_f32 v[0:1], v[2:3], v[0:1]
	v_pk_fma_f32 v[2:3], v[176:177], s[22:23], v[198:199] neg_lo:[1,0,0] neg_hi:[1,0,0]
	v_pk_mul_f32 v[30:31], v[166:167], s[76:77]
	v_mov_b32_e32 v3, v197
	v_pk_add_f32 v[0:1], v[2:3], v[0:1]
	v_pk_fma_f32 v[2:3], v[180:181], s[16:17], v[202:203] neg_lo:[1,0,0] neg_hi:[1,0,0]
	v_pk_fma_f32 v[8:9], v[52:53], s[44:45], v[24:25]
	v_mov_b32_e32 v3, v201
	v_pk_add_f32 v[0:1], v[2:3], v[0:1]
	v_pk_fma_f32 v[2:3], v[184:185], s[28:29], v[206:207] neg_lo:[1,0,0] neg_hi:[1,0,0]
	v_mov_b32_e32 v19, v9
	v_mov_b32_e32 v3, v205
	v_pk_add_f32 v[0:1], v[2:3], v[0:1]
	v_accvgpr_read_b32 v152, a26
	v_pk_mul_f32 v[2:3], v[0:1], v[144:145] op_sel_hi:[1,0]
	v_pk_fma_f32 v[144:145], v[54:55], s[36:37], v[210:211]
	v_pk_fma_f32 v[6:7], v[0:1], v[142:143], v[2:3] op_sel:[0,0,1] op_sel_hi:[1,1,0] neg_lo:[0,0,1] neg_hi:[0,0,1]
	v_pk_fma_f32 v[0:1], v[0:1], v[142:143], v[2:3] op_sel:[0,0,1] op_sel_hi:[1,0,0]
	v_pk_fma_f32 v[142:143], v[56:57], s[30:31], v[208:209]
	v_mov_b32_e32 v7, v1
	v_pk_fma_f32 v[0:1], v[56:57], s[30:31], v[208:209] neg_lo:[1,0,0] neg_hi:[1,0,0]
	ds_write2_b64 v116, v[4:5], v[6:7] offset0:34 offset1:51
	v_mov_b32_e32 v1, v143
	v_pk_fma_f32 v[2:3], v[54:55], s[36:37], v[210:211] neg_lo:[1,0,0] neg_hi:[1,0,0]
	v_pk_add_f32 v[4:5], v[38:39], v[44:45]
	v_mov_b32_e32 v3, v145
	v_pk_add_f32 v[0:1], v[0:1], v[4:5]
	v_pk_fma_f32 v[38:39], v[70:71], s[40:41], v[212:213]
	v_pk_add_f32 v[0:1], v[2:3], v[0:1]
	v_pk_fma_f32 v[2:3], v[168:169], s[40:41], v[212:213] neg_lo:[1,0,0] neg_hi:[1,0,0]
	v_pk_add_f32 v[6:7], v[36:37], v[44:45]
	v_mov_b32_e32 v3, v39
	v_pk_add_f32 v[0:1], v[2:3], v[0:1]
	v_pk_fma_f32 v[2:3], v[172:173], s[14:15], v[216:217] neg_lo:[1,0,0] neg_hi:[1,0,0]
	v_pk_fma_f32 v[36:37], v[70:71], s[14:15], v[234:235]
	v_mov_b32_e32 v3, v215
	v_pk_add_f32 v[0:1], v[2:3], v[0:1]
	v_pk_fma_f32 v[2:3], v[176:177], s[28:29], v[220:221] neg_lo:[1,0,0] neg_hi:[1,0,0]
	s_nop 0
	v_mov_b32_e32 v3, v219
	v_pk_add_f32 v[0:1], v[2:3], v[0:1]
	v_pk_fma_f32 v[2:3], v[180:181], s[46:47], v[224:225] neg_lo:[1,0,0] neg_hi:[1,0,0]
	s_nop 0
	;; [unrolled: 4-line block ×3, first 2 shown]
	v_mov_b32_e32 v3, v227
	v_pk_add_f32 v[0:1], v[2:3], v[0:1]
	s_nop 0
	v_pk_mul_f32 v[2:3], v[0:1], v[134:135] op_sel_hi:[1,0]
	v_pk_fma_f32 v[134:135], v[54:55], s[44:45], v[232:233]
	v_pk_fma_f32 v[4:5], v[0:1], v[132:133], v[2:3] op_sel:[0,0,1] op_sel_hi:[1,1,0] neg_lo:[0,0,1] neg_hi:[0,0,1]
	v_pk_fma_f32 v[0:1], v[0:1], v[132:133], v[2:3] op_sel:[0,0,1] op_sel_hi:[1,0,0]
	v_pk_fma_f32 v[132:133], v[56:57], s[34:35], v[230:231]
	v_mov_b32_e32 v5, v1
	v_pk_fma_f32 v[0:1], v[56:57], s[34:35], v[230:231] neg_lo:[1,0,0] neg_hi:[1,0,0]
	v_pk_fma_f32 v[2:3], v[54:55], s[44:45], v[232:233] neg_lo:[1,0,0] neg_hi:[1,0,0]
	v_mov_b32_e32 v1, v133
	v_mov_b32_e32 v3, v135
	v_pk_add_f32 v[0:1], v[0:1], v[6:7]
	s_nop 0
	v_pk_add_f32 v[0:1], v[2:3], v[0:1]
	v_pk_fma_f32 v[2:3], v[168:169], s[14:15], v[234:235] neg_lo:[1,0,0] neg_hi:[1,0,0]
	s_nop 0
	v_mov_b32_e32 v3, v37
	v_pk_add_f32 v[0:1], v[2:3], v[0:1]
	v_pk_fma_f32 v[2:3], v[172:173], s[30:31], v[238:239] neg_lo:[1,0,0] neg_hi:[1,0,0]
	s_nop 0
	v_mov_b32_e32 v3, v237
	;; [unrolled: 4-line block ×5, first 2 shown]
	v_pk_add_f32 v[0:1], v[2:3], v[0:1]
	s_nop 0
	v_pk_mul_f32 v[2:3], v[0:1], v[128:129] op_sel_hi:[1,0]
	v_pk_fma_f32 v[128:129], v[54:55], s[22:23], v[254:255]
	v_pk_fma_f32 v[6:7], v[0:1], v[124:125], v[2:3] op_sel:[0,0,1] op_sel_hi:[1,1,0] neg_lo:[0,0,1] neg_hi:[0,0,1]
	v_pk_fma_f32 v[0:1], v[0:1], v[124:125], v[2:3] op_sel:[0,0,1] op_sel_hi:[1,0,0]
	v_pk_fma_f32 v[124:125], v[56:57], s[36:37], v[252:253]
	v_mov_b32_e32 v7, v1
	v_pk_fma_f32 v[0:1], v[56:57], s[36:37], v[252:253] neg_lo:[1,0,0] neg_hi:[1,0,0]
	ds_write2_b64 v116, v[4:5], v[6:7] offset0:68 offset1:85
	v_mov_b32_e32 v1, v125
	v_pk_fma_f32 v[2:3], v[54:55], s[22:23], v[254:255] neg_lo:[1,0,0] neg_hi:[1,0,0]
	v_pk_add_f32 v[4:5], v[34:35], v[44:45]
	v_mov_b32_e32 v3, v129
	v_pk_add_f32 v[0:1], v[0:1], v[4:5]
	v_pk_fma_f32 v[34:35], v[70:71], s[28:29], v[72:73]
	v_pk_add_f32 v[0:1], v[2:3], v[0:1]
	v_pk_fma_f32 v[2:3], v[168:169], s[28:29], v[72:73] neg_lo:[1,0,0] neg_hi:[1,0,0]
	v_pk_add_f32 v[6:7], v[32:33], v[44:45]
	v_mov_b32_e32 v3, v35
	v_pk_add_f32 v[0:1], v[2:3], v[0:1]
	v_pk_fma_f32 v[2:3], v[172:173], s[66:67], v[68:69] neg_lo:[1,0,0] neg_hi:[1,0,0]
	v_pk_fma_f32 v[32:33], v[70:71], s[46:47], v[30:31]
	v_mov_b32_e32 v3, v23
	v_pk_add_f32 v[0:1], v[2:3], v[0:1]
	v_pk_fma_f32 v[2:3], v[176:177], s[0:1], v[64:65] neg_lo:[1,0,0] neg_hi:[1,0,0]
	s_nop 0
	v_mov_b32_e32 v3, v21
	v_pk_add_f32 v[0:1], v[2:3], v[0:1]
	v_pk_fma_f32 v[2:3], v[180:181], s[30:31], v[62:63] neg_lo:[1,0,0] neg_hi:[1,0,0]
	s_nop 0
	;; [unrolled: 4-line block ×3, first 2 shown]
	v_mov_b32_e32 v3, v15
	v_pk_add_f32 v[0:1], v[2:3], v[0:1]
	s_nop 0
	v_pk_mul_f32 v[2:3], v[0:1], v[126:127] op_sel_hi:[1,0]
	v_pk_fma_f32 v[126:127], v[54:55], s[16:17], v[40:41]
	v_pk_fma_f32 v[4:5], v[0:1], v[122:123], v[2:3] op_sel:[0,0,1] op_sel_hi:[1,1,0] neg_lo:[0,0,1] neg_hi:[0,0,1]
	v_pk_fma_f32 v[0:1], v[0:1], v[122:123], v[2:3] op_sel:[0,0,1] op_sel_hi:[1,0,0]
	v_pk_fma_f32 v[122:123], v[56:57], s[38:39], v[42:43]
	v_mov_b32_e32 v5, v1
	v_pk_fma_f32 v[0:1], v[56:57], s[38:39], v[42:43] neg_lo:[1,0,0] neg_hi:[1,0,0]
	v_pk_fma_f32 v[2:3], v[54:55], s[16:17], v[40:41] neg_lo:[1,0,0] neg_hi:[1,0,0]
	v_mov_b32_e32 v1, v123
	v_mov_b32_e32 v3, v127
	v_pk_add_f32 v[0:1], v[0:1], v[6:7]
	s_nop 0
	v_pk_add_f32 v[0:1], v[2:3], v[0:1]
	v_pk_fma_f32 v[2:3], v[168:169], s[46:47], v[30:31] neg_lo:[1,0,0] neg_hi:[1,0,0]
	s_nop 0
	v_mov_b32_e32 v3, v33
	v_pk_add_f32 v[0:1], v[2:3], v[0:1]
	v_pk_fma_f32 v[2:3], v[172:173], s[22:23], v[28:29] neg_lo:[1,0,0] neg_hi:[1,0,0]
	s_nop 0
	v_mov_b32_e32 v3, v13
	;; [unrolled: 4-line block ×3, first 2 shown]
	v_pk_add_f32 v[0:1], v[2:3], v[0:1]
	s_nop 0
	v_pk_add_f32 v[0:1], v[18:19], v[0:1]
	v_pk_mul_f32 v[18:19], v[182:183], s[48:49]
	s_nop 0
	v_pk_fma_f32 v[2:3], v[184:185], s[18:19], v[18:19] neg_lo:[1,0,0] neg_hi:[1,0,0]
	v_pk_fma_f32 v[6:7], v[46:47], s[18:19], v[18:19]
	s_nop 0
	v_mov_b32_e32 v3, v7
	v_pk_add_f32 v[0:1], v[2:3], v[0:1]
	s_nop 0
	v_pk_mul_f32 v[2:3], v[0:1], v[120:121] op_sel_hi:[1,0]
	s_nop 0
	v_pk_fma_f32 v[120:121], v[0:1], v[152:153], v[2:3] op_sel:[0,0,1] op_sel_hi:[1,1,0] neg_lo:[0,0,1] neg_hi:[0,0,1]
	v_pk_fma_f32 v[0:1], v[0:1], v[152:153], v[2:3] op_sel:[0,0,1] op_sel_hi:[1,0,0]
	v_accvgpr_read_b32 v153, a7
	v_mov_b32_e32 v121, v1
	v_pk_mul_f32 v[0:1], v[104:105], s[60:61]
	ds_write2_b64 v116, v[4:5], v[120:121] offset0:102 offset1:119
	v_pk_fma_f32 v[2:3], v[56:57], s[40:41], v[0:1] neg_lo:[1,0,0] neg_hi:[1,0,0]
	v_pk_fma_f32 v[4:5], v[56:57], s[40:41], v[0:1]
	v_pk_mul_f32 v[104:105], v[108:109], s[54:55]
	v_accvgpr_read_b32 v152, a6
	v_mov_b32_e32 v3, v5
	v_pk_fma_f32 v[108:109], v[54:55], s[28:29], v[104:105] neg_lo:[1,0,0] neg_hi:[1,0,0]
	v_pk_fma_f32 v[120:121], v[54:55], s[28:29], v[104:105]
	v_pk_add_f32 v[152:153], v[152:153], v[44:45]
	v_mov_b32_e32 v109, v121
	v_pk_add_f32 v[2:3], v[2:3], v[152:153]
	v_pk_fma_f32 v[0:1], v[56:57], s[40:41], v[0:1] neg_lo:[0,0,1] neg_hi:[0,0,1]
	v_pk_add_f32 v[2:3], v[108:109], v[2:3]
	v_pk_mul_f32 v[108:109], v[166:167], s[68:69]
	v_mov_b32_e32 v5, v1
	v_pk_fma_f32 v[152:153], v[168:169], s[44:45], v[108:109] neg_lo:[1,0,0] neg_hi:[1,0,0]
	v_pk_fma_f32 v[166:167], v[70:71], s[44:45], v[108:109]
	v_pk_fma_f32 v[0:1], v[54:55], s[28:29], v[104:105] neg_lo:[0,0,1] neg_hi:[0,0,1]
	v_mov_b32_e32 v153, v167
	v_pk_add_f32 v[2:3], v[152:153], v[2:3]
	v_pk_mul_f32 v[152:153], v[170:171], s[50:51]
	v_mov_b32_e32 v121, v1
	v_pk_fma_f32 v[168:169], v[172:173], s[20:21], v[152:153] neg_lo:[1,0,0] neg_hi:[1,0,0]
	v_pk_fma_f32 v[170:171], v[66:67], s[20:21], v[152:153]
	s_nop 0
	v_mov_b32_e32 v169, v171
	v_pk_add_f32 v[2:3], v[168:169], v[2:3]
	v_pk_mul_f32 v[168:169], v[174:175], s[56:57]
	s_nop 0
	v_pk_fma_f32 v[172:173], v[176:177], s[38:39], v[168:169] neg_lo:[1,0,0] neg_hi:[1,0,0]
	v_pk_fma_f32 v[174:175], v[58:59], s[38:39], v[168:169]
	s_nop 0
	v_mov_b32_e32 v173, v175
	v_pk_add_f32 v[2:3], v[172:173], v[2:3]
	v_pk_mul_f32 v[172:173], v[178:179], s[48:49]
	s_nop 0
	;; [unrolled: 7-line block ×3, first 2 shown]
	v_pk_fma_f32 v[180:181], v[184:185], s[66:67], v[176:177] neg_lo:[1,0,0] neg_hi:[1,0,0]
	v_pk_fma_f32 v[182:183], v[46:47], s[66:67], v[176:177]
	v_accvgpr_read_b32 v184, a24
	v_mov_b32_e32 v181, v183
	v_pk_add_f32 v[2:3], v[180:181], v[2:3]
	s_nop 0
	v_pk_mul_f32 v[112:113], v[2:3], v[112:113] op_sel_hi:[1,0]
	s_nop 0
	v_pk_fma_f32 v[180:181], v[2:3], v[184:185], v[112:113] op_sel:[0,0,1] op_sel_hi:[1,1,0] neg_lo:[0,0,1] neg_hi:[0,0,1]
	v_pk_fma_f32 v[2:3], v[2:3], v[184:185], v[112:113] op_sel:[0,0,1] op_sel_hi:[1,0,0]
	s_nop 0
	v_mov_b32_e32 v181, v3
	v_pk_add_f32 v[2:3], v[84:85], v[44:45]
	v_accvgpr_read_b32 v84, a22
	v_pk_add_f32 v[0:1], v[4:5], v[2:3]
	v_pk_fma_f32 v[2:3], v[70:71], s[44:45], v[108:109] neg_lo:[0,0,1] neg_hi:[0,0,1]
	v_pk_add_f32 v[0:1], v[120:121], v[0:1]
	v_mov_b32_e32 v167, v3
	v_pk_fma_f32 v[2:3], v[66:67], s[20:21], v[152:153] neg_lo:[0,0,1] neg_hi:[0,0,1]
	v_pk_add_f32 v[0:1], v[166:167], v[0:1]
	v_mov_b32_e32 v171, v3
	;; [unrolled: 3-line block ×5, first 2 shown]
	v_pk_add_f32 v[0:1], v[182:183], v[0:1]
	s_nop 0
	v_pk_mul_f32 v[2:3], v[0:1], v[106:107] op_sel_hi:[1,0]
	s_nop 0
	v_pk_fma_f32 v[4:5], v[0:1], v[84:85], v[2:3] op_sel:[0,0,1] op_sel_hi:[1,1,0] neg_lo:[0,0,1] neg_hi:[0,0,1]
	v_pk_fma_f32 v[0:1], v[0:1], v[84:85], v[2:3] op_sel:[0,0,1] op_sel_hi:[1,0,0]
	v_pk_fma_f32 v[2:3], v[56:57], s[38:39], v[42:43] neg_lo:[0,0,1] neg_hi:[0,0,1]
	v_mov_b32_e32 v5, v1
	v_pk_add_f32 v[0:1], v[86:87], v[44:45]
	v_mov_b32_e32 v123, v3
	v_pk_fma_f32 v[2:3], v[54:55], s[16:17], v[40:41] neg_lo:[0,0,1] neg_hi:[0,0,1]
	v_pk_add_f32 v[0:1], v[122:123], v[0:1]
	v_mov_b32_e32 v127, v3
	v_pk_fma_f32 v[2:3], v[70:71], s[46:47], v[30:31] neg_lo:[0,0,1] neg_hi:[0,0,1]
	;; [unrolled: 3-line block ×6, first 2 shown]
	v_pk_add_f32 v[0:1], v[8:9], v[0:1]
	v_mov_b32_e32 v7, v3
	v_pk_add_f32 v[0:1], v[6:7], v[0:1]
	v_accvgpr_read_b32 v6, a20
	v_pk_mul_f32 v[2:3], v[0:1], v[110:111] op_sel_hi:[1,0]
	ds_write2_b64 v116, v[180:181], v[4:5] offset0:136 offset1:153
	v_pk_fma_f32 v[4:5], v[0:1], v[6:7], v[2:3] op_sel:[0,0,1] op_sel_hi:[1,1,0] neg_lo:[0,0,1] neg_hi:[0,0,1]
	v_pk_fma_f32 v[0:1], v[0:1], v[6:7], v[2:3] op_sel:[0,0,1] op_sel_hi:[1,0,0]
	v_pk_fma_f32 v[2:3], v[56:57], s[36:37], v[252:253] neg_lo:[0,0,1] neg_hi:[0,0,1]
	v_mov_b32_e32 v5, v1
	v_pk_add_f32 v[0:1], v[88:89], v[44:45]
	v_mov_b32_e32 v125, v3
	v_pk_fma_f32 v[2:3], v[54:55], s[22:23], v[254:255] neg_lo:[0,0,1] neg_hi:[0,0,1]
	v_pk_add_f32 v[0:1], v[124:125], v[0:1]
	v_mov_b32_e32 v129, v3
	v_pk_fma_f32 v[2:3], v[70:71], s[28:29], v[72:73] neg_lo:[0,0,1] neg_hi:[0,0,1]
	;; [unrolled: 3-line block ×6, first 2 shown]
	v_pk_add_f32 v[0:1], v[16:17], v[0:1]
	v_mov_b32_e32 v15, v3
	v_pk_add_f32 v[0:1], v[14:15], v[0:1]
	v_accvgpr_read_b32 v8, a18
	v_pk_mul_f32 v[2:3], v[0:1], v[114:115] op_sel_hi:[1,0]
	s_nop 0
	v_pk_fma_f32 v[6:7], v[0:1], v[8:9], v[2:3] op_sel:[0,0,1] op_sel_hi:[1,1,0] neg_lo:[0,0,1] neg_hi:[0,0,1]
	v_pk_fma_f32 v[0:1], v[0:1], v[8:9], v[2:3] op_sel:[0,0,1] op_sel_hi:[1,0,0]
	v_pk_fma_f32 v[2:3], v[56:57], s[34:35], v[230:231] neg_lo:[0,0,1] neg_hi:[0,0,1]
	v_mov_b32_e32 v7, v1
	v_pk_add_f32 v[0:1], v[90:91], v[44:45]
	v_mov_b32_e32 v133, v3
	v_pk_fma_f32 v[2:3], v[54:55], s[44:45], v[232:233] neg_lo:[0,0,1] neg_hi:[0,0,1]
	v_pk_add_f32 v[0:1], v[132:133], v[0:1]
	v_mov_b32_e32 v135, v3
	v_pk_fma_f32 v[2:3], v[70:71], s[14:15], v[234:235] neg_lo:[0,0,1] neg_hi:[0,0,1]
	;; [unrolled: 3-line block ×6, first 2 shown]
	v_pk_add_f32 v[0:1], v[244:245], v[0:1]
	v_mov_b32_e32 v249, v3
	v_pk_add_f32 v[0:1], v[248:249], v[0:1]
	ds_write2_b64 v116, v[4:5], v[6:7] offset0:170 offset1:187
	v_pk_mul_f32 v[2:3], v[0:1], v[118:119] op_sel_hi:[1,0]
	v_accvgpr_read_b32 v6, a16
	v_pk_fma_f32 v[4:5], v[0:1], v[6:7], v[2:3] op_sel:[0,0,1] op_sel_hi:[1,1,0] neg_lo:[0,0,1] neg_hi:[0,0,1]
	v_pk_fma_f32 v[0:1], v[0:1], v[6:7], v[2:3] op_sel:[0,0,1] op_sel_hi:[1,0,0]
	v_pk_fma_f32 v[2:3], v[56:57], s[30:31], v[208:209] neg_lo:[0,0,1] neg_hi:[0,0,1]
	v_mov_b32_e32 v5, v1
	v_pk_add_f32 v[0:1], v[94:95], v[44:45]
	v_mov_b32_e32 v143, v3
	v_pk_fma_f32 v[2:3], v[54:55], s[36:37], v[210:211] neg_lo:[0,0,1] neg_hi:[0,0,1]
	v_pk_add_f32 v[0:1], v[142:143], v[0:1]
	v_mov_b32_e32 v145, v3
	v_pk_fma_f32 v[2:3], v[70:71], s[40:41], v[212:213] neg_lo:[0,0,1] neg_hi:[0,0,1]
	;; [unrolled: 3-line block ×6, first 2 shown]
	v_pk_add_f32 v[0:1], v[222:223], v[0:1]
	v_mov_b32_e32 v227, v3
	v_pk_add_f32 v[0:1], v[226:227], v[0:1]
	v_accvgpr_read_b32 v8, a14
	v_pk_mul_f32 v[2:3], v[0:1], v[136:137] op_sel_hi:[1,0]
	s_nop 0
	v_pk_fma_f32 v[6:7], v[0:1], v[8:9], v[2:3] op_sel:[0,0,1] op_sel_hi:[1,1,0] neg_lo:[0,0,1] neg_hi:[0,0,1]
	v_pk_fma_f32 v[0:1], v[0:1], v[8:9], v[2:3] op_sel:[0,0,1] op_sel_hi:[1,0,0]
	v_pk_fma_f32 v[2:3], v[56:57], s[20:21], v[186:187] neg_lo:[0,0,1] neg_hi:[0,0,1]
	v_mov_b32_e32 v7, v1
	v_pk_add_f32 v[0:1], v[98:99], v[44:45]
	v_mov_b32_e32 v147, v3
	v_pk_fma_f32 v[2:3], v[54:55], s[42:43], v[188:189] neg_lo:[0,0,1] neg_hi:[0,0,1]
	v_pk_add_f32 v[0:1], v[146:147], v[0:1]
	v_mov_b32_e32 v149, v3
	v_pk_fma_f32 v[2:3], v[70:71], s[36:37], v[190:191] neg_lo:[0,0,1] neg_hi:[0,0,1]
	;; [unrolled: 3-line block ×6, first 2 shown]
	v_pk_add_f32 v[0:1], v[200:201], v[0:1]
	v_mov_b32_e32 v205, v3
	v_pk_add_f32 v[0:1], v[204:205], v[0:1]
	ds_write2_b64 v116, v[4:5], v[6:7] offset0:204 offset1:221
	v_pk_mul_f32 v[2:3], v[0:1], v[140:141] op_sel_hi:[1,0]
	v_accvgpr_read_b32 v6, a12
	v_pk_fma_f32 v[4:5], v[0:1], v[6:7], v[2:3] op_sel:[0,0,1] op_sel_hi:[1,1,0] neg_lo:[0,0,1] neg_hi:[0,0,1]
	v_pk_fma_f32 v[0:1], v[0:1], v[6:7], v[2:3] op_sel:[0,0,1] op_sel_hi:[1,0,0]
	v_accvgpr_read_b32 v2, a42
	v_accvgpr_read_b32 v3, a43
	v_pk_fma_f32 v[2:3], v[56:57], s[16:17], v[2:3] neg_lo:[0,0,1] neg_hi:[0,0,1]
	v_mov_b32_e32 v5, v1
	v_mov_b32_e32 v93, v3
	v_accvgpr_read_b32 v2, a44
	v_accvgpr_read_b32 v3, a45
	v_pk_fma_f32 v[2:3], v[54:55], s[20:21], v[2:3] neg_lo:[0,0,1] neg_hi:[0,0,1]
	v_pk_add_f32 v[0:1], v[100:101], v[44:45]
	v_mov_b32_e32 v97, v3
	v_accvgpr_read_b32 v2, a46
	v_accvgpr_read_b32 v3, a47
	v_pk_fma_f32 v[2:3], v[70:71], s[30:31], v[2:3] neg_lo:[0,0,1] neg_hi:[0,0,1]
	v_pk_add_f32 v[0:1], v[92:93], v[0:1]
	;; [unrolled: 5-line block ×4, first 2 shown]
	v_mov_b32_e32 v155, v3
	v_accvgpr_read_b32 v2, a52
	v_accvgpr_read_b32 v3, a53
	v_pk_add_f32 v[0:1], v[150:151], v[0:1]
	v_pk_fma_f32 v[2:3], v[52:53], s[38:39], v[2:3] neg_lo:[0,0,1] neg_hi:[0,0,1]
	v_pk_add_f32 v[0:1], v[154:155], v[0:1]
	v_mov_b32_e32 v159, v3
	v_pk_fma_f32 v[2:3], v[46:47], s[40:41], v[164:165] neg_lo:[0,0,1] neg_hi:[0,0,1]
	v_pk_add_f32 v[0:1], v[158:159], v[0:1]
	v_mov_b32_e32 v163, v3
	v_pk_add_f32 v[0:1], v[162:163], v[0:1]
	v_accvgpr_read_b32 v8, a10
	v_pk_mul_f32 v[2:3], v[0:1], v[156:157] op_sel_hi:[1,0]
	s_nop 0
	v_pk_fma_f32 v[6:7], v[0:1], v[8:9], v[2:3] op_sel:[0,0,1] op_sel_hi:[1,1,0] neg_lo:[0,0,1] neg_hi:[0,0,1]
	v_pk_fma_f32 v[0:1], v[0:1], v[8:9], v[2:3] op_sel:[0,0,1] op_sel_hi:[1,0,0]
	v_accvgpr_read_b32 v2, a28
	v_accvgpr_read_b32 v3, a29
	v_pk_fma_f32 v[2:3], v[56:57], s[0:1], v[2:3] neg_lo:[0,0,1] neg_hi:[0,0,1]
	v_mov_b32_e32 v7, v1
	v_mov_b32_e32 v131, v3
	v_accvgpr_read_b32 v2, a30
	v_accvgpr_read_b32 v3, a31
	v_pk_fma_f32 v[2:3], v[54:55], s[14:15], v[2:3] neg_lo:[0,0,1] neg_hi:[0,0,1]
	v_pk_add_f32 v[0:1], v[102:103], v[44:45]
	v_mov_b32_e32 v139, v3
	v_accvgpr_read_b32 v2, a32
	v_accvgpr_read_b32 v3, a33
	v_pk_fma_f32 v[2:3], v[70:71], s[16:17], v[2:3] neg_lo:[0,0,1] neg_hi:[0,0,1]
	v_pk_add_f32 v[0:1], v[130:131], v[0:1]
	;; [unrolled: 5-line block ×5, first 2 shown]
	v_mov_b32_e32 v77, v3
	v_accvgpr_read_b32 v2, a40
	v_accvgpr_read_b32 v3, a41
	v_pk_add_f32 v[0:1], v[78:79], v[0:1]
	v_pk_fma_f32 v[2:3], v[46:47], s[30:31], v[2:3] neg_lo:[0,0,1] neg_hi:[0,0,1]
	v_pk_add_f32 v[0:1], v[76:77], v[0:1]
	v_mov_b32_e32 v75, v3
	v_pk_add_f32 v[0:1], v[74:75], v[0:1]
	ds_write2_b64 v116, v[4:5], v[6:7] offset0:238 offset1:255
	v_pk_mul_f32 v[2:3], v[0:1], v[160:161] op_sel_hi:[1,0]
	v_accvgpr_read_b32 v6, a8
	v_pk_fma_f32 v[4:5], v[0:1], v[6:7], v[2:3] op_sel:[0,0,1] op_sel_hi:[1,1,0] neg_lo:[0,0,1] neg_hi:[0,0,1]
	v_pk_fma_f32 v[0:1], v[0:1], v[6:7], v[2:3] op_sel:[0,0,1] op_sel_hi:[1,0,0]
	s_nop 0
	v_mov_b32_e32 v5, v1
	ds_write_b64 v116, v[4:5] offset:2176
	s_waitcnt lgkmcnt(0)
	s_barrier
	s_and_saveexec_b64 s[0:1], s[2:3]
	s_cbranch_execz .LBB0_16
; %bb.15:
	v_accvgpr_read_b32 v2, a4
	v_mad_u64_u32 v[4:5], s[2:3], s6, v2, 0
	v_mov_b32_e32 v0, v5
	v_accvgpr_read_b32 v11, a0
	v_mad_u64_u32 v[0:1], s[2:3], s7, v2, v[0:1]
	v_mad_u64_u32 v[6:7], s[2:3], s4, v11, 0
	s_mul_i32 s0, s9, s26
	s_mul_hi_u32 s1, s8, s26
	v_mov_b32_e32 v5, v0
	v_mov_b32_e32 v0, v7
	s_add_i32 s1, s1, s0
	s_mul_i32 s0, s8, s26
	v_mad_u64_u32 v[0:1], s[2:3], s5, v11, v[0:1]
	v_mov_b32_e32 v7, v0
	v_mul_u32_u24_e32 v0, 0x908, v2
	v_accvgpr_read_b32 v1, a5
	s_lshl_b64 s[0:1], s[0:1], 3
	v_add3_u32 v10, 0, v0, v1
	s_add_u32 s2, s10, s0
	s_addc_u32 s3, s11, s1
	s_lshl_b64 s[0:1], s[24:25], 3
	ds_read2_b64 v[0:3], v10 offset1:17
	s_add_u32 s0, s2, s0
	s_addc_u32 s1, s3, s1
	v_lshl_add_u64 v[4:5], v[4:5], 3, s[0:1]
	v_lshl_add_u64 v[6:7], v[6:7], 3, v[4:5]
	s_waitcnt lgkmcnt(0)
	global_store_dwordx2 v[6:7], v[0:1], off
	v_accvgpr_read_b32 v7, a3
	v_mad_u64_u32 v[0:1], s[0:1], s4, v7, 0
	v_mov_b32_e32 v6, v1
	v_mad_u64_u32 v[6:7], s[0:1], s5, v7, v[6:7]
	v_mov_b32_e32 v1, v6
	v_lshl_add_u64 v[0:1], v[0:1], 3, v[4:5]
	v_accvgpr_read_b32 v9, a2
	global_store_dwordx2 v[0:1], v[2:3], off
	v_mad_u64_u32 v[6:7], s[0:1], s4, v9, 0
	ds_read2_b64 v[0:3], v10 offset0:34 offset1:51
	v_mov_b32_e32 v8, v7
	v_mad_u64_u32 v[8:9], s[0:1], s5, v9, v[8:9]
	v_mov_b32_e32 v7, v8
	v_lshl_add_u64 v[6:7], v[6:7], 3, v[4:5]
	s_waitcnt lgkmcnt(0)
	global_store_dwordx2 v[6:7], v[0:1], off
	v_accvgpr_read_b32 v7, a1
	v_mad_u64_u32 v[0:1], s[0:1], s4, v7, 0
	v_mov_b32_e32 v6, v1
	v_mad_u64_u32 v[6:7], s[0:1], s5, v7, v[6:7]
	v_mov_b32_e32 v1, v6
	v_lshl_add_u64 v[0:1], v[0:1], 3, v[4:5]
	v_add_u32_e32 v9, 0x44, v11
	global_store_dwordx2 v[0:1], v[2:3], off
	v_mad_u64_u32 v[6:7], s[0:1], s4, v9, 0
	ds_read2_b64 v[0:3], v10 offset0:68 offset1:85
	v_mov_b32_e32 v8, v7
	v_mad_u64_u32 v[8:9], s[0:1], s5, v9, v[8:9]
	v_mov_b32_e32 v7, v8
	v_lshl_add_u64 v[6:7], v[6:7], 3, v[4:5]
	s_waitcnt lgkmcnt(0)
	global_store_dwordx2 v[6:7], v[0:1], off
	v_add_u32_e32 v7, 0x55, v11
	v_mad_u64_u32 v[0:1], s[0:1], s4, v7, 0
	v_mov_b32_e32 v6, v1
	v_mad_u64_u32 v[6:7], s[0:1], s5, v7, v[6:7]
	v_mov_b32_e32 v1, v6
	v_lshl_add_u64 v[0:1], v[0:1], 3, v[4:5]
	v_add_u32_e32 v9, 0x66, v11
	global_store_dwordx2 v[0:1], v[2:3], off
	v_mad_u64_u32 v[6:7], s[0:1], s4, v9, 0
	ds_read2_b64 v[0:3], v10 offset0:102 offset1:119
	v_mov_b32_e32 v8, v7
	v_mad_u64_u32 v[8:9], s[0:1], s5, v9, v[8:9]
	v_mov_b32_e32 v7, v8
	v_lshl_add_u64 v[6:7], v[6:7], 3, v[4:5]
	s_waitcnt lgkmcnt(0)
	global_store_dwordx2 v[6:7], v[0:1], off
	v_add_u32_e32 v7, 0x77, v11
	;; [unrolled: 16-line block ×6, first 2 shown]
	v_mad_u64_u32 v[0:1], s[0:1], s4, v7, 0
	v_mov_b32_e32 v6, v1
	v_mad_u64_u32 v[6:7], s[0:1], s5, v7, v[6:7]
	v_mov_b32_e32 v1, v6
	v_lshl_add_u64 v[0:1], v[0:1], 3, v[4:5]
	global_store_dwordx2 v[0:1], v[2:3], off
	v_add_u32_e32 v3, 0x110, v11
	v_mad_u64_u32 v[0:1], s[0:1], s4, v3, 0
	ds_read_b64 v[6:7], v10 offset:2176
	v_mov_b32_e32 v2, v1
	v_mad_u64_u32 v[2:3], s[0:1], s5, v3, v[2:3]
	v_mov_b32_e32 v1, v2
	v_lshl_add_u64 v[0:1], v[0:1], 3, v[4:5]
	s_waitcnt lgkmcnt(0)
	global_store_dwordx2 v[0:1], v[6:7], off
.LBB0_16:
	s_endpgm
	.section	.rodata,"a",@progbits
	.p2align	6, 0x0
	.amdhsa_kernel fft_rtc_fwd_len289_factors_17_17_wgs_119_tpt_17_sp_op_CI_CI_sbcc_twdbase8_3step
		.amdhsa_group_segment_fixed_size 0
		.amdhsa_private_segment_fixed_size 0
		.amdhsa_kernarg_size 112
		.amdhsa_user_sgpr_count 2
		.amdhsa_user_sgpr_dispatch_ptr 0
		.amdhsa_user_sgpr_queue_ptr 0
		.amdhsa_user_sgpr_kernarg_segment_ptr 1
		.amdhsa_user_sgpr_dispatch_id 0
		.amdhsa_user_sgpr_kernarg_preload_length 0
		.amdhsa_user_sgpr_kernarg_preload_offset 0
		.amdhsa_user_sgpr_private_segment_size 0
		.amdhsa_uses_dynamic_stack 0
		.amdhsa_enable_private_segment 0
		.amdhsa_system_sgpr_workgroup_id_x 1
		.amdhsa_system_sgpr_workgroup_id_y 0
		.amdhsa_system_sgpr_workgroup_id_z 0
		.amdhsa_system_sgpr_workgroup_info 0
		.amdhsa_system_vgpr_workitem_id 0
		.amdhsa_next_free_vgpr 310
		.amdhsa_next_free_sgpr 84
		.amdhsa_accum_offset 256
		.amdhsa_reserve_vcc 1
		.amdhsa_float_round_mode_32 0
		.amdhsa_float_round_mode_16_64 0
		.amdhsa_float_denorm_mode_32 3
		.amdhsa_float_denorm_mode_16_64 3
		.amdhsa_dx10_clamp 1
		.amdhsa_ieee_mode 1
		.amdhsa_fp16_overflow 0
		.amdhsa_tg_split 0
		.amdhsa_exception_fp_ieee_invalid_op 0
		.amdhsa_exception_fp_denorm_src 0
		.amdhsa_exception_fp_ieee_div_zero 0
		.amdhsa_exception_fp_ieee_overflow 0
		.amdhsa_exception_fp_ieee_underflow 0
		.amdhsa_exception_fp_ieee_inexact 0
		.amdhsa_exception_int_div_zero 0
	.end_amdhsa_kernel
	.text
.Lfunc_end0:
	.size	fft_rtc_fwd_len289_factors_17_17_wgs_119_tpt_17_sp_op_CI_CI_sbcc_twdbase8_3step, .Lfunc_end0-fft_rtc_fwd_len289_factors_17_17_wgs_119_tpt_17_sp_op_CI_CI_sbcc_twdbase8_3step
                                        ; -- End function
	.section	.AMDGPU.csdata,"",@progbits
; Kernel info:
; codeLenInByte = 17596
; NumSgprs: 90
; NumVgprs: 256
; NumAgprs: 54
; TotalNumVgprs: 310
; ScratchSize: 0
; MemoryBound: 0
; FloatMode: 240
; IeeeMode: 1
; LDSByteSize: 0 bytes/workgroup (compile time only)
; SGPRBlocks: 11
; VGPRBlocks: 38
; NumSGPRsForWavesPerEU: 90
; NumVGPRsForWavesPerEU: 310
; AccumOffset: 256
; Occupancy: 1
; WaveLimiterHint : 1
; COMPUTE_PGM_RSRC2:SCRATCH_EN: 0
; COMPUTE_PGM_RSRC2:USER_SGPR: 2
; COMPUTE_PGM_RSRC2:TRAP_HANDLER: 0
; COMPUTE_PGM_RSRC2:TGID_X_EN: 1
; COMPUTE_PGM_RSRC2:TGID_Y_EN: 0
; COMPUTE_PGM_RSRC2:TGID_Z_EN: 0
; COMPUTE_PGM_RSRC2:TIDIG_COMP_CNT: 0
; COMPUTE_PGM_RSRC3_GFX90A:ACCUM_OFFSET: 63
; COMPUTE_PGM_RSRC3_GFX90A:TG_SPLIT: 0
	.text
	.p2alignl 6, 3212836864
	.fill 256, 4, 3212836864
	.type	__hip_cuid_bd7f6de10a02890f,@object ; @__hip_cuid_bd7f6de10a02890f
	.section	.bss,"aw",@nobits
	.globl	__hip_cuid_bd7f6de10a02890f
__hip_cuid_bd7f6de10a02890f:
	.byte	0                               ; 0x0
	.size	__hip_cuid_bd7f6de10a02890f, 1

	.ident	"AMD clang version 19.0.0git (https://github.com/RadeonOpenCompute/llvm-project roc-6.4.0 25133 c7fe45cf4b819c5991fe208aaa96edf142730f1d)"
	.section	".note.GNU-stack","",@progbits
	.addrsig
	.addrsig_sym __hip_cuid_bd7f6de10a02890f
	.amdgpu_metadata
---
amdhsa.kernels:
  - .agpr_count:     54
    .args:
      - .actual_access:  read_only
        .address_space:  global
        .offset:         0
        .size:           8
        .value_kind:     global_buffer
      - .address_space:  global
        .offset:         8
        .size:           8
        .value_kind:     global_buffer
      - .offset:         16
        .size:           8
        .value_kind:     by_value
      - .actual_access:  read_only
        .address_space:  global
        .offset:         24
        .size:           8
        .value_kind:     global_buffer
      - .actual_access:  read_only
        .address_space:  global
        .offset:         32
        .size:           8
        .value_kind:     global_buffer
      - .actual_access:  read_only
        .address_space:  global
        .offset:         40
        .size:           8
        .value_kind:     global_buffer
      - .offset:         48
        .size:           8
        .value_kind:     by_value
      - .actual_access:  read_only
        .address_space:  global
        .offset:         56
        .size:           8
        .value_kind:     global_buffer
      - .actual_access:  read_only
        .address_space:  global
        .offset:         64
        .size:           8
        .value_kind:     global_buffer
      - .offset:         72
        .size:           4
        .value_kind:     by_value
      - .actual_access:  read_only
        .address_space:  global
        .offset:         80
        .size:           8
        .value_kind:     global_buffer
      - .actual_access:  read_only
        .address_space:  global
        .offset:         88
        .size:           8
        .value_kind:     global_buffer
      - .actual_access:  read_only
        .address_space:  global
        .offset:         96
        .size:           8
        .value_kind:     global_buffer
      - .actual_access:  write_only
        .address_space:  global
        .offset:         104
        .size:           8
        .value_kind:     global_buffer
    .group_segment_fixed_size: 0
    .kernarg_segment_align: 8
    .kernarg_segment_size: 112
    .language:       OpenCL C
    .language_version:
      - 2
      - 0
    .max_flat_workgroup_size: 119
    .name:           fft_rtc_fwd_len289_factors_17_17_wgs_119_tpt_17_sp_op_CI_CI_sbcc_twdbase8_3step
    .private_segment_fixed_size: 0
    .sgpr_count:     90
    .sgpr_spill_count: 0
    .symbol:         fft_rtc_fwd_len289_factors_17_17_wgs_119_tpt_17_sp_op_CI_CI_sbcc_twdbase8_3step.kd
    .uniform_work_group_size: 1
    .uses_dynamic_stack: false
    .vgpr_count:     310
    .vgpr_spill_count: 0
    .wavefront_size: 64
amdhsa.target:   amdgcn-amd-amdhsa--gfx950
amdhsa.version:
  - 1
  - 2
...

	.end_amdgpu_metadata
